;; amdgpu-corpus repo=ROCm/rocFFT kind=compiled arch=gfx1030 opt=O3
	.text
	.amdgcn_target "amdgcn-amd-amdhsa--gfx1030"
	.amdhsa_code_object_version 6
	.protected	fft_rtc_fwd_len1632_factors_17_2_2_3_8_wgs_102_tpt_102_halfLds_half_ip_CI_unitstride_sbrr_R2C_dirReg ; -- Begin function fft_rtc_fwd_len1632_factors_17_2_2_3_8_wgs_102_tpt_102_halfLds_half_ip_CI_unitstride_sbrr_R2C_dirReg
	.globl	fft_rtc_fwd_len1632_factors_17_2_2_3_8_wgs_102_tpt_102_halfLds_half_ip_CI_unitstride_sbrr_R2C_dirReg
	.p2align	8
	.type	fft_rtc_fwd_len1632_factors_17_2_2_3_8_wgs_102_tpt_102_halfLds_half_ip_CI_unitstride_sbrr_R2C_dirReg,@function
fft_rtc_fwd_len1632_factors_17_2_2_3_8_wgs_102_tpt_102_halfLds_half_ip_CI_unitstride_sbrr_R2C_dirReg: ; @fft_rtc_fwd_len1632_factors_17_2_2_3_8_wgs_102_tpt_102_halfLds_half_ip_CI_unitstride_sbrr_R2C_dirReg
; %bb.0:
	s_clause 0x2
	s_load_dwordx4 s[8:11], s[4:5], 0x0
	s_load_dwordx2 s[2:3], s[4:5], 0x50
	s_load_dwordx2 s[12:13], s[4:5], 0x18
	v_mul_u32_u24_e32 v1, 0x283, v0
	v_mov_b32_e32 v3, 0
	v_add_nc_u32_sdwa v5, s6, v1 dst_sel:DWORD dst_unused:UNUSED_PAD src0_sel:DWORD src1_sel:WORD_1
	v_mov_b32_e32 v1, 0
	v_mov_b32_e32 v6, v3
	v_mov_b32_e32 v2, 0
	s_waitcnt lgkmcnt(0)
	v_cmp_lt_u64_e64 s0, s[10:11], 2
	s_and_b32 vcc_lo, exec_lo, s0
	s_cbranch_vccnz .LBB0_8
; %bb.1:
	s_load_dwordx2 s[0:1], s[4:5], 0x10
	v_mov_b32_e32 v1, 0
	s_add_u32 s6, s12, 8
	v_mov_b32_e32 v2, 0
	s_addc_u32 s7, s13, 0
	s_mov_b64 s[16:17], 1
	s_waitcnt lgkmcnt(0)
	s_add_u32 s14, s0, 8
	s_addc_u32 s15, s1, 0
.LBB0_2:                                ; =>This Inner Loop Header: Depth=1
	s_load_dwordx2 s[18:19], s[14:15], 0x0
                                        ; implicit-def: $vgpr7_vgpr8
	s_mov_b32 s0, exec_lo
	s_waitcnt lgkmcnt(0)
	v_or_b32_e32 v4, s19, v6
	v_cmpx_ne_u64_e32 0, v[3:4]
	s_xor_b32 s1, exec_lo, s0
	s_cbranch_execz .LBB0_4
; %bb.3:                                ;   in Loop: Header=BB0_2 Depth=1
	v_cvt_f32_u32_e32 v4, s18
	v_cvt_f32_u32_e32 v7, s19
	s_sub_u32 s0, 0, s18
	s_subb_u32 s20, 0, s19
	v_fmac_f32_e32 v4, 0x4f800000, v7
	v_rcp_f32_e32 v4, v4
	v_mul_f32_e32 v4, 0x5f7ffffc, v4
	v_mul_f32_e32 v7, 0x2f800000, v4
	v_trunc_f32_e32 v7, v7
	v_fmac_f32_e32 v4, 0xcf800000, v7
	v_cvt_u32_f32_e32 v7, v7
	v_cvt_u32_f32_e32 v4, v4
	v_mul_lo_u32 v8, s0, v7
	v_mul_hi_u32 v9, s0, v4
	v_mul_lo_u32 v10, s20, v4
	v_add_nc_u32_e32 v8, v9, v8
	v_mul_lo_u32 v9, s0, v4
	v_add_nc_u32_e32 v8, v8, v10
	v_mul_hi_u32 v10, v4, v9
	v_mul_lo_u32 v11, v4, v8
	v_mul_hi_u32 v12, v4, v8
	v_mul_hi_u32 v13, v7, v9
	v_mul_lo_u32 v9, v7, v9
	v_mul_hi_u32 v14, v7, v8
	v_mul_lo_u32 v8, v7, v8
	v_add_co_u32 v10, vcc_lo, v10, v11
	v_add_co_ci_u32_e32 v11, vcc_lo, 0, v12, vcc_lo
	v_add_co_u32 v9, vcc_lo, v10, v9
	v_add_co_ci_u32_e32 v9, vcc_lo, v11, v13, vcc_lo
	v_add_co_ci_u32_e32 v10, vcc_lo, 0, v14, vcc_lo
	v_add_co_u32 v8, vcc_lo, v9, v8
	v_add_co_ci_u32_e32 v9, vcc_lo, 0, v10, vcc_lo
	v_add_co_u32 v4, vcc_lo, v4, v8
	v_add_co_ci_u32_e32 v7, vcc_lo, v7, v9, vcc_lo
	v_mul_hi_u32 v8, s0, v4
	v_mul_lo_u32 v10, s20, v4
	v_mul_lo_u32 v9, s0, v7
	v_add_nc_u32_e32 v8, v8, v9
	v_mul_lo_u32 v9, s0, v4
	v_add_nc_u32_e32 v8, v8, v10
	v_mul_hi_u32 v10, v4, v9
	v_mul_lo_u32 v11, v4, v8
	v_mul_hi_u32 v12, v4, v8
	v_mul_hi_u32 v13, v7, v9
	v_mul_lo_u32 v9, v7, v9
	v_mul_hi_u32 v14, v7, v8
	v_mul_lo_u32 v8, v7, v8
	v_add_co_u32 v10, vcc_lo, v10, v11
	v_add_co_ci_u32_e32 v11, vcc_lo, 0, v12, vcc_lo
	v_add_co_u32 v9, vcc_lo, v10, v9
	v_add_co_ci_u32_e32 v9, vcc_lo, v11, v13, vcc_lo
	v_add_co_ci_u32_e32 v10, vcc_lo, 0, v14, vcc_lo
	v_add_co_u32 v8, vcc_lo, v9, v8
	v_add_co_ci_u32_e32 v9, vcc_lo, 0, v10, vcc_lo
	v_add_co_u32 v4, vcc_lo, v4, v8
	v_add_co_ci_u32_e32 v11, vcc_lo, v7, v9, vcc_lo
	v_mul_hi_u32 v13, v5, v4
	v_mad_u64_u32 v[9:10], null, v6, v4, 0
	v_mad_u64_u32 v[7:8], null, v5, v11, 0
	;; [unrolled: 1-line block ×3, first 2 shown]
	v_add_co_u32 v4, vcc_lo, v13, v7
	v_add_co_ci_u32_e32 v7, vcc_lo, 0, v8, vcc_lo
	v_add_co_u32 v4, vcc_lo, v4, v9
	v_add_co_ci_u32_e32 v4, vcc_lo, v7, v10, vcc_lo
	v_add_co_ci_u32_e32 v7, vcc_lo, 0, v12, vcc_lo
	v_add_co_u32 v4, vcc_lo, v4, v11
	v_add_co_ci_u32_e32 v9, vcc_lo, 0, v7, vcc_lo
	v_mul_lo_u32 v10, s19, v4
	v_mad_u64_u32 v[7:8], null, s18, v4, 0
	v_mul_lo_u32 v11, s18, v9
	v_sub_co_u32 v7, vcc_lo, v5, v7
	v_add3_u32 v8, v8, v11, v10
	v_sub_nc_u32_e32 v10, v6, v8
	v_subrev_co_ci_u32_e64 v10, s0, s19, v10, vcc_lo
	v_add_co_u32 v11, s0, v4, 2
	v_add_co_ci_u32_e64 v12, s0, 0, v9, s0
	v_sub_co_u32 v13, s0, v7, s18
	v_sub_co_ci_u32_e32 v8, vcc_lo, v6, v8, vcc_lo
	v_subrev_co_ci_u32_e64 v10, s0, 0, v10, s0
	v_cmp_le_u32_e32 vcc_lo, s18, v13
	v_cmp_eq_u32_e64 s0, s19, v8
	v_cndmask_b32_e64 v13, 0, -1, vcc_lo
	v_cmp_le_u32_e32 vcc_lo, s19, v10
	v_cndmask_b32_e64 v14, 0, -1, vcc_lo
	v_cmp_le_u32_e32 vcc_lo, s18, v7
	;; [unrolled: 2-line block ×3, first 2 shown]
	v_cndmask_b32_e64 v15, 0, -1, vcc_lo
	v_cmp_eq_u32_e32 vcc_lo, s19, v10
	v_cndmask_b32_e64 v7, v15, v7, s0
	v_cndmask_b32_e32 v10, v14, v13, vcc_lo
	v_add_co_u32 v13, vcc_lo, v4, 1
	v_add_co_ci_u32_e32 v14, vcc_lo, 0, v9, vcc_lo
	v_cmp_ne_u32_e32 vcc_lo, 0, v10
	v_cndmask_b32_e32 v8, v14, v12, vcc_lo
	v_cndmask_b32_e32 v10, v13, v11, vcc_lo
	v_cmp_ne_u32_e32 vcc_lo, 0, v7
	v_cndmask_b32_e32 v8, v9, v8, vcc_lo
	v_cndmask_b32_e32 v7, v4, v10, vcc_lo
.LBB0_4:                                ;   in Loop: Header=BB0_2 Depth=1
	s_andn2_saveexec_b32 s0, s1
	s_cbranch_execz .LBB0_6
; %bb.5:                                ;   in Loop: Header=BB0_2 Depth=1
	v_cvt_f32_u32_e32 v4, s18
	s_sub_i32 s1, 0, s18
	v_rcp_iflag_f32_e32 v4, v4
	v_mul_f32_e32 v4, 0x4f7ffffe, v4
	v_cvt_u32_f32_e32 v4, v4
	v_mul_lo_u32 v7, s1, v4
	v_mul_hi_u32 v7, v4, v7
	v_add_nc_u32_e32 v4, v4, v7
	v_mul_hi_u32 v4, v5, v4
	v_mul_lo_u32 v7, v4, s18
	v_add_nc_u32_e32 v8, 1, v4
	v_sub_nc_u32_e32 v7, v5, v7
	v_subrev_nc_u32_e32 v9, s18, v7
	v_cmp_le_u32_e32 vcc_lo, s18, v7
	v_cndmask_b32_e32 v7, v7, v9, vcc_lo
	v_cndmask_b32_e32 v4, v4, v8, vcc_lo
	v_cmp_le_u32_e32 vcc_lo, s18, v7
	v_add_nc_u32_e32 v8, 1, v4
	v_cndmask_b32_e32 v7, v4, v8, vcc_lo
	v_mov_b32_e32 v8, v3
.LBB0_6:                                ;   in Loop: Header=BB0_2 Depth=1
	s_or_b32 exec_lo, exec_lo, s0
	s_load_dwordx2 s[0:1], s[6:7], 0x0
	v_mul_lo_u32 v4, v8, s18
	v_mul_lo_u32 v11, v7, s19
	v_mad_u64_u32 v[9:10], null, v7, s18, 0
	s_add_u32 s16, s16, 1
	s_addc_u32 s17, s17, 0
	s_add_u32 s6, s6, 8
	s_addc_u32 s7, s7, 0
	;; [unrolled: 2-line block ×3, first 2 shown]
	v_add3_u32 v4, v10, v11, v4
	v_sub_co_u32 v5, vcc_lo, v5, v9
	v_sub_co_ci_u32_e32 v4, vcc_lo, v6, v4, vcc_lo
	s_waitcnt lgkmcnt(0)
	v_mul_lo_u32 v6, s1, v5
	v_mul_lo_u32 v4, s0, v4
	v_mad_u64_u32 v[1:2], null, s0, v5, v[1:2]
	v_cmp_ge_u64_e64 s0, s[16:17], s[10:11]
	s_and_b32 vcc_lo, exec_lo, s0
	v_add3_u32 v2, v6, v2, v4
	s_cbranch_vccnz .LBB0_9
; %bb.7:                                ;   in Loop: Header=BB0_2 Depth=1
	v_mov_b32_e32 v5, v7
	v_mov_b32_e32 v6, v8
	s_branch .LBB0_2
.LBB0_8:
	v_mov_b32_e32 v8, v6
	v_mov_b32_e32 v7, v5
.LBB0_9:
	s_lshl_b64 s[0:1], s[10:11], 3
	v_mul_hi_u32 v3, 0x2828283, v0
	s_add_u32 s0, s12, s0
	s_addc_u32 s1, s13, s1
	s_load_dwordx2 s[0:1], s[0:1], 0x0
	s_load_dwordx2 s[4:5], s[4:5], 0x20
	v_mul_u32_u24_e32 v3, 0x66, v3
	v_sub_nc_u32_e32 v0, v0, v3
	v_lshl_add_u32 v20, v0, 2, 0
	s_waitcnt lgkmcnt(0)
	v_mul_lo_u32 v4, s0, v8
	v_mul_lo_u32 v5, s1, v7
	v_mad_u64_u32 v[1:2], null, s0, v7, v[1:2]
	v_cmp_gt_u64_e32 vcc_lo, s[4:5], v[7:8]
	v_add3_u32 v2, v5, v2, v4
	v_lshlrev_b64 v[2:3], 2, v[1:2]
	s_and_saveexec_b32 s1, vcc_lo
	s_cbranch_execz .LBB0_11
; %bb.10:
	v_mov_b32_e32 v1, 0
	v_add_nc_u32_e32 v21, 0x400, v20
	v_add_nc_u32_e32 v22, 0x800, v20
	;; [unrolled: 1-line block ×4, first 2 shown]
	v_lshlrev_b64 v[4:5], 2, v[0:1]
	v_add_co_u32 v1, s0, s2, v2
	v_add_co_ci_u32_e64 v6, s0, s3, v3, s0
	v_add_nc_u32_e32 v25, 0x1200, v20
	v_add_co_u32 v4, s0, v1, v4
	v_add_co_ci_u32_e64 v5, s0, v6, v5, s0
	v_add_nc_u32_e32 v26, 0x1400, v20
	v_add_co_u32 v6, s0, 0x800, v4
	v_add_co_ci_u32_e64 v7, s0, 0, v5, s0
	v_add_co_u32 v8, s0, 0x1000, v4
	v_add_co_ci_u32_e64 v9, s0, 0, v5, s0
	s_clause 0xf
	global_load_dword v1, v[4:5], off
	global_load_dword v10, v[4:5], off offset:408
	global_load_dword v11, v[4:5], off offset:816
	;; [unrolled: 1-line block ×15, first 2 shown]
	v_add_nc_u32_e32 v9, 0x200, v20
	s_waitcnt vmcnt(14)
	ds_write2_b32 v20, v1, v10 offset1:102
	s_waitcnt vmcnt(12)
	ds_write2_b32 v9, v11, v12 offset0:76 offset1:178
	s_waitcnt vmcnt(10)
	ds_write2_b32 v21, v13, v4 offset0:152 offset1:254
	;; [unrolled: 2-line block ×7, first 2 shown]
.LBB0_11:
	s_or_b32 exec_lo, exec_lo, s1
	s_waitcnt lgkmcnt(0)
	s_barrier
	buffer_gl0_inv
	ds_read2_b32 v[4:5], v20 offset1:96
	ds_read_b32 v34, v20 offset:6144
	v_add_nc_u32_e32 v22, 0x1400, v20
	v_add_nc_u32_e32 v23, 0x200, v20
	ds_read2_b32 v[6:7], v22 offset0:64 offset1:160
	ds_read2_b32 v[16:17], v23 offset0:64 offset1:160
	v_add_nc_u32_e32 v24, 0x800, v20
	v_add_nc_u32_e32 v27, 0xe00, v20
	;; [unrolled: 1-line block ×4, first 2 shown]
	v_mov_b32_e32 v70, 0xb5c8
	ds_read2_b32 v[12:13], v24 offset0:64 offset1:160
	ds_read2_b32 v[10:11], v27 offset0:64 offset1:160
	;; [unrolled: 1-line block ×4, first 2 shown]
	v_mov_b32_e32 v73, 0xb964
	v_mov_b32_e32 v76, 0xbb29
	;; [unrolled: 1-line block ×3, first 2 shown]
	v_add_nc_u32_e32 v28, 0xc00, v20
	v_mov_b32_e32 v71, 0xbbb2
	v_mov_b32_e32 v77, 0xba62
	s_waitcnt lgkmcnt(6)
	v_pk_add_f16 v30, v5, v34 neg_lo:[0,1] neg_hi:[0,1]
	v_pk_add_f16 v37, v34, v5
	v_mov_b32_e32 v75, 0xb836
	v_mov_b32_e32 v74, 0xb1e1
	s_mov_b32 s1, exec_lo
	v_mul_f16_sdwa v46, v30, v70 dst_sel:DWORD dst_unused:UNUSED_PAD src0_sel:WORD_1 src1_sel:DWORD
	s_waitcnt lgkmcnt(4)
	v_pk_add_f16 v31, v16, v7 neg_lo:[0,1] neg_hi:[0,1]
	v_lshrrev_b32_e32 v57, 16, v37
	v_mul_f16_e32 v53, 0xb5c8, v30
	v_pk_add_f16 v39, v7, v16
	v_pk_add_f16 v29, v17, v6 neg_lo:[0,1] neg_hi:[0,1]
	v_fmamk_f16 v1, v37, 0x3b76, v46
	v_mul_f16_sdwa v48, v31, v73 dst_sel:DWORD dst_unused:UNUSED_PAD src0_sel:WORD_1 src1_sel:DWORD
	v_pk_add_f16 v32, v6, v17
	v_fma_f16 v18, v57, 0x3b76, -v53
	v_lshrrev_b32_e32 v59, 16, v39
	v_mul_f16_e32 v56, 0xb964, v31
	v_add_f16_e32 v1, v4, v1
	v_fmamk_f16 v19, v39, 0x39e9, v48
	v_mul_f16_sdwa v47, v29, v76 dst_sel:DWORD dst_unused:UNUSED_PAD src0_sel:WORD_1 src1_sel:DWORD
	v_lshrrev_b32_e32 v58, 16, v32
	v_add_f16_sdwa v18, v4, v18 dst_sel:DWORD dst_unused:UNUSED_PAD src0_sel:WORD_1 src1_sel:DWORD
	v_fma_f16 v21, v59, 0x39e9, -v56
	v_add_f16_e32 v1, v19, v1
	v_mul_f16_e32 v54, 0xbb29, v29
	v_fmamk_f16 v19, v32, 0x3722, v47
	s_waitcnt lgkmcnt(0)
	v_pk_add_f16 v33, v14, v9 neg_lo:[0,1] neg_hi:[0,1]
	v_pk_add_f16 v36, v9, v14
	v_add_f16_e32 v18, v21, v18
	v_pk_add_f16 v35, v15, v8 neg_lo:[0,1] neg_hi:[0,1]
	v_add_f16_e32 v1, v19, v1
	v_fma_f16 v19, v58, 0x3722, -v54
	v_mul_f16_sdwa v49, v33, v72 dst_sel:DWORD dst_unused:UNUSED_PAD src0_sel:WORD_1 src1_sel:DWORD
	v_lshrrev_b32_e32 v62, 16, v36
	v_mul_f16_e32 v60, 0xbbf7, v33
	v_pk_add_f16 v38, v8, v15
	v_add_f16_e32 v21, v19, v18
	v_fmamk_f16 v18, v36, 0x2de8, v49
	v_mul_f16_sdwa v50, v35, v71 dst_sel:DWORD dst_unused:UNUSED_PAD src0_sel:WORD_1 src1_sel:DWORD
	v_pk_add_f16 v41, v12, v11 neg_lo:[0,1] neg_hi:[0,1]
	v_fma_f16 v40, v62, 0x2de8, -v60
	v_lshrrev_b32_e32 v64, 16, v38
	v_add_f16_e32 v1, v18, v1
	ds_read2_b32 v[18:19], v28 offset1:96
	v_mul_f16_e32 v66, 0xbbb2, v35
	v_fmamk_f16 v42, v38, 0xb461, v50
	v_pk_add_f16 v43, v11, v12
	v_mul_f16_sdwa v61, v41, v77 dst_sel:DWORD dst_unused:UNUSED_PAD src0_sel:WORD_1 src1_sel:DWORD
	v_add_f16_e32 v21, v40, v21
	v_fma_f16 v40, v64, 0xb461, -v66
	v_add_f16_e32 v1, v42, v1
	v_lshrrev_b32_e32 v68, 16, v43
	v_fmamk_f16 v45, v43, 0xb8d2, v61
	v_mul_f16_e32 v67, 0xba62, v41
	v_pk_add_f16 v42, v13, v10 neg_lo:[0,1] neg_hi:[0,1]
	v_pk_add_f16 v44, v10, v13
	v_add_f16_e32 v21, v40, v21
	v_add_f16_e32 v1, v45, v1
	v_fma_f16 v52, v68, 0xb8d2, -v67
	v_mul_f16_sdwa v51, v42, v75 dst_sel:DWORD dst_unused:UNUSED_PAD src0_sel:WORD_1 src1_sel:DWORD
	v_lshrrev_b32_e32 v69, 16, v44
	v_mul_f16_e32 v65, 0xb836, v42
	s_waitcnt lgkmcnt(0)
	v_pk_add_f16 v40, v18, v19 neg_lo:[0,1] neg_hi:[0,1]
	v_pk_add_f16 v45, v19, v18
	v_add_f16_e32 v21, v52, v21
	v_fmamk_f16 v78, v44, 0xbacd, v51
	v_fma_f16 v79, v69, 0xbacd, -v65
	v_mul_f16_sdwa v52, v40, v74 dst_sel:DWORD dst_unused:UNUSED_PAD src0_sel:WORD_1 src1_sel:DWORD
	v_lshrrev_b32_e32 v63, 16, v45
	v_mul_f16_e32 v55, 0xb1e1, v40
	v_add_f16_e32 v1, v78, v1
	v_add_f16_e32 v21, v79, v21
	v_fmamk_f16 v78, v45, 0xbbdd, v52
	s_barrier
	v_fma_f16 v79, v63, 0xbbdd, -v55
	buffer_gl0_inv
	v_add_f16_e32 v1, v78, v1
	v_add_f16_e32 v21, v79, v21
	v_cmpx_gt_u32_e32 0x60, v0
	s_cbranch_execz .LBB0_13
; %bb.12:
	v_pk_add_f16 v5, v4, v5
	v_mul_f16_sdwa v81, v30, v73 dst_sel:DWORD dst_unused:UNUSED_PAD src0_sel:WORD_1 src1_sel:DWORD
	v_mul_f16_sdwa v80, v31, v72 dst_sel:DWORD dst_unused:UNUSED_PAD src0_sel:WORD_1 src1_sel:DWORD
	v_mul_f16_e32 v86, 0x3722, v57
	v_mul_f16_sdwa v79, v29, v77 dst_sel:DWORD dst_unused:UNUSED_PAD src0_sel:WORD_1 src1_sel:DWORD
	v_pk_add_f16 v5, v5, v16
	v_mul_f16_e32 v85, 0xb8d2, v59
	v_mul_f16_sdwa v78, v33, v74 dst_sel:DWORD dst_unused:UNUSED_PAD src0_sel:WORD_1 src1_sel:DWORD
	v_fmamk_f16 v16, v30, 0x3b29, v86
	v_mov_b32_e32 v90, 0x3836
	v_pk_add_f16 v5, v5, v17
	v_mul_f16_e32 v82, 0xbbdd, v58
	v_fmamk_f16 v17, v31, 0x3a62, v85
	v_fmamk_f16 v89, v32, 0xb8d2, v79
	v_add_f16_sdwa v16, v4, v16 dst_sel:DWORD dst_unused:UNUSED_PAD src0_sel:WORD_1 src1_sel:DWORD
	v_pk_add_f16 v5, v5, v14
	v_fmamk_f16 v14, v37, 0x39e9, v81
	v_mul_f16_e32 v84, 0xb461, v62
	v_mov_b32_e32 v91, 0x3bb2
	v_fmamk_f16 v94, v36, 0xbbdd, v78
	v_pk_add_f16 v5, v5, v15
	v_fmamk_f16 v15, v39, 0x2de8, v80
	v_add_f16_e32 v14, v4, v14
	v_mul_f16_sdwa v83, v35, v90 dst_sel:DWORD dst_unused:UNUSED_PAD src0_sel:WORD_1 src1_sel:DWORD
	v_mul_f16_e32 v88, 0x39e9, v64
	v_pk_add_f16 v5, v5, v12
	v_fmamk_f16 v12, v29, 0xb1e1, v82
	v_add_f16_e32 v14, v15, v14
	v_add_f16_e32 v15, v17, v16
	v_mul_f16_sdwa v17, v41, v91 dst_sel:DWORD dst_unused:UNUSED_PAD src0_sel:WORD_1 src1_sel:DWORD
	v_pk_add_f16 v5, v5, v13
	v_fmamk_f16 v13, v33, 0xbbb2, v84
	v_add_f16_e32 v14, v89, v14
	v_fmamk_f16 v16, v38, 0xbacd, v83
	v_add_f16_e32 v12, v12, v15
	v_pk_add_f16 v5, v5, v18
	v_mul_f16_e32 v87, 0x3b76, v68
	v_add_f16_e32 v14, v94, v14
	v_fmamk_f16 v15, v35, 0xb964, v88
	v_fmamk_f16 v18, v43, 0xb461, v17
	v_pk_add_f16 v5, v5, v19
	v_add_f16_e32 v12, v13, v12
	v_add_f16_e32 v13, v16, v14
	v_mul_f16_e32 v94, 0x2de8, v57
	v_mul_f16_e32 v95, 0xbbdd, v59
	v_pk_add_f16 v5, v5, v10
	v_fmamk_f16 v10, v41, 0x35c8, v87
	v_add_f16_e32 v14, v15, v12
	v_add_f16_e32 v15, v18, v13
	v_mul_f16_e32 v18, 0x2de8, v69
	v_pk_add_f16 v12, v5, v11
	v_mul_f16_sdwa v96, v30, v72 dst_sel:DWORD dst_unused:UNUSED_PAD src0_sel:WORD_1 src1_sel:DWORD
	v_add_f16_e32 v10, v10, v14
	v_fmamk_f16 v14, v30, 0x3bf7, v94
	v_fmamk_f16 v11, v42, 0x3bf7, v18
	v_mov_b32_e32 v92, 0x3b29
	v_mul_f16_e32 v97, 0xb461, v58
	v_fmamk_f16 v19, v37, 0x2de8, v96
	v_mul_f16_sdwa v98, v31, v74 dst_sel:DWORD dst_unused:UNUSED_PAD src0_sel:WORD_1 src1_sel:DWORD
	v_add_f16_e32 v10, v11, v10
	v_add_f16_sdwa v11, v4, v14 dst_sel:DWORD dst_unused:UNUSED_PAD src0_sel:WORD_1 src1_sel:DWORD
	v_fmamk_f16 v14, v31, 0x31e1, v95
	v_mov_b32_e32 v93, 0x35c8
	v_mul_f16_sdwa v16, v42, v92 dst_sel:DWORD dst_unused:UNUSED_PAD src0_sel:WORD_1 src1_sel:DWORD
	v_mul_f16_e32 v99, 0x3b76, v62
	v_add_f16_e32 v19, v4, v19
	v_add_f16_e32 v11, v14, v11
	v_fmamk_f16 v14, v29, 0xbbb2, v97
	v_fmamk_f16 v100, v39, 0xbbdd, v98
	v_mul_f16_sdwa v101, v29, v91 dst_sel:DWORD dst_unused:UNUSED_PAD src0_sel:WORD_1 src1_sel:DWORD
	v_fmamk_f16 v5, v44, 0x3722, v16
	v_mul_f16_sdwa v13, v40, v93 dst_sel:DWORD dst_unused:UNUSED_PAD src0_sel:WORD_1 src1_sel:DWORD
	v_mul_f16_e32 v89, 0xbacd, v63
	v_add_f16_e32 v11, v14, v11
	v_fmamk_f16 v14, v33, 0xb5c8, v99
	v_mul_f16_e32 v102, 0x3722, v64
	v_add_f16_e32 v19, v100, v19
	v_fmamk_f16 v100, v32, 0xb461, v101
	v_mul_f16_sdwa v93, v33, v93 dst_sel:DWORD dst_unused:UNUSED_PAD src0_sel:WORD_1 src1_sel:DWORD
	v_add_f16_e32 v5, v5, v15
	v_fmamk_f16 v15, v45, 0x3b76, v13
	v_fmamk_f16 v103, v40, 0x3836, v89
	v_add_f16_e32 v11, v14, v11
	v_fmamk_f16 v14, v35, 0x3b29, v102
	v_add_f16_e32 v19, v100, v19
	v_fmamk_f16 v100, v36, 0x3b76, v93
	v_mul_f16_sdwa v104, v35, v76 dst_sel:DWORD dst_unused:UNUSED_PAD src0_sel:WORD_1 src1_sel:DWORD
	v_add_f16_e32 v5, v15, v5
	v_add_f16_e32 v10, v103, v10
	;; [unrolled: 1-line block ×4, first 2 shown]
	v_fmamk_f16 v15, v38, 0x3722, v104
	v_mul_f16_sdwa v100, v41, v75 dst_sel:DWORD dst_unused:UNUSED_PAD src0_sel:WORD_1 src1_sel:DWORD
	v_mov_b32_e32 v103, 0x3a62
	v_mul_f16_e32 v105, 0xb461, v57
	v_mul_f16_e32 v106, 0xbacd, v68
	v_add_f16_e32 v14, v15, v14
	v_fmamk_f16 v15, v43, 0xbacd, v100
	v_mul_f16_sdwa v107, v42, v103 dst_sel:DWORD dst_unused:UNUSED_PAD src0_sel:WORD_1 src1_sel:DWORD
	v_fmamk_f16 v19, v30, 0x3bb2, v105
	v_mul_f16_e32 v108, 0xbacd, v59
	v_fmamk_f16 v109, v41, 0x3836, v106
	v_add_f16_e32 v14, v15, v14
	v_fmamk_f16 v15, v44, 0xb8d2, v107
	v_add_f16_sdwa v19, v4, v19 dst_sel:DWORD dst_unused:UNUSED_PAD src0_sel:WORD_1 src1_sel:DWORD
	v_fmamk_f16 v110, v31, 0xb836, v108
	v_mul_f16_e32 v111, 0x39e9, v58
	v_add_f16_e32 v11, v109, v11
	v_mul_f16_sdwa v109, v30, v71 dst_sel:DWORD dst_unused:UNUSED_PAD src0_sel:WORD_1 src1_sel:DWORD
	v_add_f16_e32 v14, v15, v14
	v_add_f16_e32 v15, v110, v19
	v_fmamk_f16 v19, v29, 0xb964, v111
	v_mul_f16_e32 v110, 0x3722, v62
	v_mov_b32_e32 v112, 0x3964
	v_fmamk_f16 v113, v37, 0xb461, v109
	v_mul_f16_sdwa v90, v31, v90 dst_sel:DWORD dst_unused:UNUSED_PAD src0_sel:WORD_1 src1_sel:DWORD
	v_add_f16_e32 v15, v19, v15
	v_fmamk_f16 v19, v33, 0x3b29, v110
	v_mul_f16_e32 v114, 0xbbdd, v64
	v_add_f16_e32 v113, v4, v113
	v_fmamk_f16 v115, v39, 0xbacd, v90
	v_mul_f16_sdwa v116, v29, v112 dst_sel:DWORD dst_unused:UNUSED_PAD src0_sel:WORD_1 src1_sel:DWORD
	v_add_f16_e32 v15, v19, v15
	v_fmamk_f16 v19, v35, 0x31e1, v114
	v_mul_f16_sdwa v76, v33, v76 dst_sel:DWORD dst_unused:UNUSED_PAD src0_sel:WORD_1 src1_sel:DWORD
	v_add_f16_e32 v113, v115, v113
	v_fmamk_f16 v115, v32, 0x39e9, v116
	v_mul_f16_e32 v119, 0x2de8, v68
	v_add_f16_e32 v15, v19, v15
	v_mov_b32_e32 v120, 0x3bf7
	v_mul_f16_e32 v122, 0x3b76, v69
	v_add_f16_e32 v19, v115, v113
	v_fmamk_f16 v113, v36, 0x3722, v76
	v_mul_f16_sdwa v115, v35, v74 dst_sel:DWORD dst_unused:UNUSED_PAD src0_sel:WORD_1 src1_sel:DWORD
	v_fmamk_f16 v121, v41, 0xbbf7, v119
	v_mul_f16_sdwa v123, v41, v120 dst_sel:DWORD dst_unused:UNUSED_PAD src0_sel:WORD_1 src1_sel:DWORD
	v_mul_f16_sdwa v117, v40, v112 dst_sel:DWORD dst_unused:UNUSED_PAD src0_sel:WORD_1 src1_sel:DWORD
	v_add_f16_e32 v19, v113, v19
	v_fmamk_f16 v113, v38, 0xbbdd, v115
	v_add_f16_e32 v15, v121, v15
	v_fmamk_f16 v121, v42, 0x35c8, v122
	v_mul_f16_e32 v124, 0xb8d2, v63
	v_mul_f16_sdwa v125, v42, v70 dst_sel:DWORD dst_unused:UNUSED_PAD src0_sel:WORD_1 src1_sel:DWORD
	v_add_f16_e32 v19, v113, v19
	v_fmamk_f16 v113, v43, 0x2de8, v123
	v_fmamk_f16 v118, v45, 0x39e9, v117
	v_add_f16_e32 v15, v121, v15
	v_fmamk_f16 v121, v40, 0x3a62, v124
	v_mul_f16_e32 v126, 0xb8d2, v57
	v_add_f16_e32 v19, v113, v19
	v_fmamk_f16 v113, v44, 0x3b76, v125
	v_add_f16_e32 v14, v118, v14
	v_add_f16_e32 v15, v121, v15
	v_fmamk_f16 v118, v30, 0x3a62, v126
	v_mul_f16_e32 v121, 0xb461, v59
	v_add_f16_e32 v19, v113, v19
	v_mul_f16_sdwa v113, v40, v77 dst_sel:DWORD dst_unused:UNUSED_PAD src0_sel:WORD_1 src1_sel:DWORD
	v_mul_f16_sdwa v77, v30, v77 dst_sel:DWORD dst_unused:UNUSED_PAD src0_sel:WORD_1 src1_sel:DWORD
	v_add_f16_sdwa v118, v4, v118 dst_sel:DWORD dst_unused:UNUSED_PAD src0_sel:WORD_1 src1_sel:DWORD
	v_fmamk_f16 v127, v31, 0xbbb2, v121
	v_mul_f16_e32 v128, 0x3b76, v58
	v_mul_f16_sdwa v91, v31, v91 dst_sel:DWORD dst_unused:UNUSED_PAD src0_sel:WORD_1 src1_sel:DWORD
	v_fmamk_f16 v130, v37, 0xb8d2, v77
	v_mul_f16_e32 v131, 0xbacd, v62
	v_add_f16_e32 v118, v127, v118
	v_fmamk_f16 v127, v29, 0x35c8, v128
	v_fmamk_f16 v132, v39, 0xb461, v91
	v_add_f16_e32 v130, v4, v130
	v_mul_f16_sdwa v133, v29, v70 dst_sel:DWORD dst_unused:UNUSED_PAD src0_sel:WORD_1 src1_sel:DWORD
	v_mul_f16_e32 v134, 0x2de8, v64
	v_add_f16_e32 v118, v127, v118
	v_fmamk_f16 v127, v33, 0x3836, v131
	v_add_f16_e32 v130, v132, v130
	v_fmamk_f16 v132, v32, 0x3b76, v133
	v_mul_f16_sdwa v135, v33, v75 dst_sel:DWORD dst_unused:UNUSED_PAD src0_sel:WORD_1 src1_sel:DWORD
	v_mul_f16_e32 v136, 0x39e9, v68
	v_add_f16_e32 v118, v127, v118
	v_fmamk_f16 v127, v35, 0xbbf7, v134
	v_add_f16_e32 v130, v132, v130
	v_fmamk_f16 v132, v36, 0xbacd, v135
	v_mul_f16_sdwa v120, v35, v120 dst_sel:DWORD dst_unused:UNUSED_PAD src0_sel:WORD_1 src1_sel:DWORD
	v_fmamk_f16 v129, v45, 0xb8d2, v113
	v_add_f16_e32 v118, v127, v118
	v_fmamk_f16 v127, v41, 0x3964, v136
	v_mul_f16_e32 v137, 0xbbdd, v69
	v_add_f16_e32 v130, v132, v130
	v_fmamk_f16 v132, v38, 0x2de8, v120
	v_mul_f16_sdwa v138, v41, v73 dst_sel:DWORD dst_unused:UNUSED_PAD src0_sel:WORD_1 src1_sel:DWORD
	v_mul_f16_e32 v139, 0xbacd, v57
	v_add_f16_e32 v73, v127, v118
	v_fmamk_f16 v118, v42, 0x31e1, v137
	v_mul_f16_e32 v127, 0x3722, v63
	v_add_f16_e32 v130, v132, v130
	v_fmamk_f16 v132, v43, 0x39e9, v138
	v_add_f16_e32 v19, v129, v19
	v_fmamk_f16 v129, v30, 0x3836, v139
	v_mul_f16_e32 v141, 0x3722, v59
	v_mul_f16_sdwa v140, v42, v74 dst_sel:DWORD dst_unused:UNUSED_PAD src0_sel:WORD_1 src1_sel:DWORD
	v_add_f16_e32 v73, v118, v73
	v_fmamk_f16 v118, v40, 0xbb29, v127
	v_add_f16_e32 v130, v132, v130
	v_add_f16_sdwa v129, v4, v129 dst_sel:DWORD dst_unused:UNUSED_PAD src0_sel:WORD_1 src1_sel:DWORD
	v_fmamk_f16 v132, v31, 0xbb29, v141
	v_mul_f16_e32 v142, 0x2de8, v58
	v_fmamk_f16 v143, v44, 0xbbdd, v140
	v_mul_f16_sdwa v144, v40, v92 dst_sel:DWORD dst_unused:UNUSED_PAD src0_sel:WORD_1 src1_sel:DWORD
	v_add_f16_e32 v73, v118, v73
	v_add_f16_e32 v118, v132, v129
	v_fmamk_f16 v129, v29, 0x3bf7, v142
	v_mul_f16_e32 v132, 0xb8d2, v62
	v_add_f16_e32 v130, v143, v130
	v_fmamk_f16 v143, v45, 0x3722, v144
	v_mul_f16_e32 v146, 0x3b76, v64
	v_add_f16_e32 v118, v129, v118
	v_fmamk_f16 v129, v33, 0xba62, v132
	v_mul_f16_sdwa v145, v30, v75 dst_sel:DWORD dst_unused:UNUSED_PAD src0_sel:WORD_1 src1_sel:DWORD
	v_add_f16_e32 v75, v143, v130
	v_mul_f16_e32 v143, 0xbbdd, v68
	v_mul_f16_e32 v148, 0x39e9, v69
	v_add_f16_e32 v118, v129, v118
	v_fmamk_f16 v129, v35, 0x35c8, v146
	v_fmac_f16_e32 v139, 0xb836, v30
	v_fmac_f16_e32 v141, 0x3b29, v31
	;; [unrolled: 1-line block ×3, first 2 shown]
	v_fmamk_f16 v130, v37, 0xbacd, v145
	v_add_f16_e32 v118, v129, v118
	v_fmamk_f16 v129, v41, 0x31e1, v143
	v_mul_f16_sdwa v92, v31, v92 dst_sel:DWORD dst_unused:UNUSED_PAD src0_sel:WORD_1 src1_sel:DWORD
	v_fmac_f16_e32 v132, 0x3a62, v33
	v_fma_f16 v81, v37, 0x39e9, -v81
	v_mul_f16_e32 v57, 0x3b76, v57
	v_add_f16_e32 v118, v129, v118
	v_fmamk_f16 v129, v42, 0xb964, v148
	v_add_f16_e32 v130, v4, v130
	v_fmamk_f16 v147, v39, 0x3722, v92
	v_mul_f16_sdwa v72, v29, v72 dst_sel:DWORD dst_unused:UNUSED_PAD src0_sel:WORD_1 src1_sel:DWORD
	v_fma_f16 v92, v39, 0x3722, -v92
	v_add_f16_e32 v118, v129, v118
	v_add_f16_sdwa v129, v4, v139 dst_sel:DWORD dst_unused:UNUSED_PAD src0_sel:WORD_1 src1_sel:DWORD
	v_fmac_f16_e32 v126, 0xba62, v30
	v_add_f16_e32 v81, v4, v81
	v_fma_f16 v80, v39, 0x2de8, -v80
	v_mul_f16_e32 v59, 0x39e9, v59
	v_add_f16_e32 v129, v141, v129
	v_add_f16_e32 v53, v53, v57
	;; [unrolled: 1-line block ×3, first 2 shown]
	v_fmamk_f16 v147, v32, 0x2de8, v72
	v_mul_f16_sdwa v103, v33, v103 dst_sel:DWORD dst_unused:UNUSED_PAD src0_sel:WORD_1 src1_sel:DWORD
	v_add_f16_e32 v129, v142, v129
	v_fma_f16 v142, v37, 0xbacd, -v145
	v_fma_f16 v72, v32, 0x2de8, -v72
	v_add_f16_sdwa v126, v4, v126 dst_sel:DWORD dst_unused:UNUSED_PAD src0_sel:WORD_1 src1_sel:DWORD
	v_fmac_f16_e32 v121, 0x3bb2, v31
	v_add_f16_e32 v129, v132, v129
	v_add_f16_e32 v132, v4, v142
	v_add_f16_e32 v57, v80, v81
	v_fma_f16 v79, v32, 0xb8d2, -v79
	v_add_f16_e32 v56, v56, v59
	v_add_f16_sdwa v53, v4, v53 dst_sel:DWORD dst_unused:UNUSED_PAD src0_sel:WORD_1 src1_sel:DWORD
	v_add_f16_e32 v92, v92, v132
	v_mul_f16_e32 v58, 0x3722, v58
	v_add_f16_e32 v130, v147, v130
	v_fmamk_f16 v147, v36, 0xb8d2, v103
	v_mul_f16_sdwa v70, v35, v70 dst_sel:DWORD dst_unused:UNUSED_PAD src0_sel:WORD_1 src1_sel:DWORD
	v_add_f16_e32 v72, v72, v92
	v_fma_f16 v92, v36, 0xb8d2, -v103
	v_add_f16_e32 v103, v121, v126
	v_fmac_f16_e32 v128, 0xb5c8, v29
	v_add_f16_e32 v57, v79, v57
	v_fma_f16 v59, v36, 0xbbdd, -v78
	v_add_f16_e32 v53, v56, v53
	v_add_f16_e32 v54, v54, v58
	v_mul_f16_e32 v56, 0x2de8, v62
	v_mul_f16_e32 v58, 0x3b76, v37
	v_add_f16_e32 v130, v147, v130
	v_fmamk_f16 v139, v38, 0x3b76, v70
	v_mul_f16_sdwa v74, v41, v74 dst_sel:DWORD dst_unused:UNUSED_PAD src0_sel:WORD_1 src1_sel:DWORD
	v_add_f16_e32 v72, v92, v72
	v_fma_f16 v70, v38, 0x3b76, -v70
	v_add_f16_e32 v92, v128, v103
	v_fmac_f16_e32 v131, 0xb836, v33
	v_fma_f16 v77, v37, 0xb8d2, -v77
	v_add_f16_e32 v57, v59, v57
	v_fma_f16 v59, v38, 0xbacd, -v83
	v_add_f16_e32 v53, v54, v53
	v_mul_f16_e32 v54, 0x39e9, v39
	v_add_f16_e32 v56, v60, v56
	v_mul_f16_e32 v62, 0xb461, v64
	v_sub_f16_e32 v46, v58, v46
	v_add_f16_e32 v130, v139, v130
	v_fmamk_f16 v139, v43, 0xbbdd, v74
	v_mul_f16_sdwa v112, v42, v112 dst_sel:DWORD dst_unused:UNUSED_PAD src0_sel:WORD_1 src1_sel:DWORD
	v_add_f16_e32 v70, v70, v72
	v_fma_f16 v72, v43, 0xbbdd, -v74
	v_add_f16_e32 v74, v131, v92
	v_fmac_f16_e32 v134, 0x3bf7, v35
	v_add_f16_e32 v77, v4, v77
	v_fma_f16 v91, v39, 0xb461, -v91
	v_mul_f16_e32 v60, 0x3722, v32
	v_add_f16_e32 v57, v59, v57
	v_fma_f16 v17, v43, 0xb461, -v17
	v_add_f16_e32 v53, v56, v53
	v_add_f16_e32 v62, v66, v62
	v_mul_f16_e32 v66, 0xb8d2, v68
	v_pk_mul_f16 v58, 0x39e93722, v37
	v_sub_f16_e32 v48, v54, v48
	v_add_f16_e32 v46, v4, v46
	v_mul_f16_sdwa v71, v40, v71 dst_sel:DWORD dst_unused:UNUSED_PAD src0_sel:WORD_1 src1_sel:DWORD
	v_add_f16_e32 v70, v72, v70
	v_fma_f16 v72, v44, 0x39e9, -v112
	v_add_f16_e32 v74, v134, v74
	v_fmac_f16_e32 v136, 0xb964, v41
	v_add_f16_e32 v77, v91, v77
	v_fma_f16 v91, v32, 0x3b76, -v133
	v_mul_f16_e32 v59, 0x2de8, v36
	v_add_f16_e32 v17, v17, v57
	v_add_f16_e32 v53, v62, v53
	v_fma_f16 v16, v44, 0x3722, -v16
	v_add_f16_e32 v66, v67, v66
	v_pk_mul_f16 v67, 0x2de8b8d2, v39
	v_pk_fma_f16 v54, 0xbb29b964, v30, v58 op_sel:[0,0,1] op_sel_hi:[1,1,0] neg_lo:[0,1,0] neg_hi:[0,1,0]
	v_add_f16_e32 v46, v48, v46
	v_sub_f16_e32 v47, v60, v47
	v_pk_fma_f16 v58, 0xbb29b964, v30, v58 op_sel:[0,0,1] op_sel_hi:[1,1,0]
	v_fmamk_f16 v132, v45, 0xb461, v71
	v_add_f16_e32 v70, v72, v70
	v_fma_f16 v71, v45, 0xb461, -v71
	v_add_f16_e32 v72, v136, v74
	v_fmac_f16_e32 v137, 0xb1e1, v42
	v_add_f16_e32 v74, v91, v77
	v_fma_f16 v77, v36, 0xbacd, -v135
	v_fmac_f16_e32 v105, 0xbbb2, v30
	v_fmac_f16_e32 v86, 0xbb29, v30
	v_mul_f16_e32 v56, 0xb461, v38
	v_mul_f16_e32 v68, 0xbacd, v69
	v_add_f16_e32 v16, v16, v17
	v_pk_fma_f16 v17, 0xba62bbf7, v31, v67 op_sel:[0,0,1] op_sel_hi:[1,1,0] neg_lo:[0,1,0] neg_hi:[0,1,0]
	v_add_f16_e32 v53, v66, v53
	v_pk_mul_f16 v66, 0xb8d2bbdd, v32
	v_add_f16_sdwa v48, v4, v54 dst_sel:DWORD dst_unused:UNUSED_PAD src0_sel:WORD_1 src1_sel:DWORD
	v_add_f16_e32 v46, v47, v46
	v_sub_f16_e32 v49, v59, v49
	v_pk_fma_f16 v67, 0xba62bbf7, v31, v67 op_sel:[0,0,1] op_sel_hi:[1,1,0]
	v_bfi_b32 v54, 0xffff, v58, v54
	v_add_f16_e32 v70, v71, v70
	v_add_f16_e32 v71, v137, v72
	;; [unrolled: 1-line block ×3, first 2 shown]
	v_fma_f16 v74, v38, 0x2de8, -v120
	v_add_f16_sdwa v77, v4, v105 dst_sel:DWORD dst_unused:UNUSED_PAD src0_sel:WORD_1 src1_sel:DWORD
	v_fmac_f16_e32 v108, 0x3836, v31
	v_fma_f16 v92, v37, 0xb461, -v109
	v_add_f16_sdwa v86, v4, v86 dst_sel:DWORD dst_unused:UNUSED_PAD src0_sel:WORD_1 src1_sel:DWORD
	v_fmac_f16_e32 v85, 0xba62, v31
	v_mul_f16_e32 v64, 0xb8d2, v43
	v_pk_mul_f16 v60, 0xbbddb461, v36
	v_add_f16_e32 v65, v65, v68
	v_pk_fma_f16 v68, 0x31e1ba62, v29, v66 op_sel:[0,0,1] op_sel_hi:[1,1,0] neg_lo:[0,1,0] neg_hi:[0,1,0]
	v_add_f16_e32 v48, v17, v48
	v_add_f16_e32 v46, v49, v46
	v_sub_f16_e32 v50, v56, v50
	v_pk_fma_f16 v66, 0x31e1ba62, v29, v66 op_sel:[0,0,1] op_sel_hi:[1,1,0]
	v_bfi_b32 v17, 0xffff, v67, v17
	v_pk_add_f16 v54, v4, v54 op_sel:[1,0] op_sel_hi:[0,1]
	v_add_f16_e32 v72, v74, v72
	v_fma_f16 v74, v43, 0x39e9, -v138
	v_add_f16_e32 v77, v108, v77
	v_fmac_f16_e32 v111, 0x3964, v29
	v_add_f16_e32 v92, v4, v92
	v_fma_f16 v90, v39, 0xbacd, -v90
	v_add_f16_e32 v85, v85, v86
	v_fmac_f16_e32 v82, 0x31e1, v29
	v_mul_f16_e32 v57, 0xbacd, v44
	v_pk_fma_f16 v47, 0x3bb2b1e1, v33, v60 op_sel:[0,0,1] op_sel_hi:[1,1,0] neg_lo:[0,1,0] neg_hi:[0,1,0]
	v_pk_mul_f16 v59, 0xbacd39e9, v38
	v_add_f16_e32 v46, v50, v46
	v_sub_f16_e32 v61, v64, v61
	v_pk_fma_f16 v60, 0x3bb2b1e1, v33, v60 op_sel:[0,0,1] op_sel_hi:[1,1,0]
	v_pk_add_f16 v17, v17, v54
	v_pk_add_f16 v8, v12, v8
	v_bfi_b32 v12, 0xffff, v66, v68
	v_add_f16_e32 v72, v74, v72
	v_fma_f16 v74, v44, 0xbbdd, -v140
	v_add_f16_e32 v77, v111, v77
	v_fmac_f16_e32 v110, 0xbb29, v33
	v_add_f16_e32 v90, v90, v92
	v_fma_f16 v92, v32, 0x39e9, -v116
	v_mul_f16_e32 v147, 0xb461, v63
	v_add_f16_e32 v82, v82, v85
	v_mul_f16_e32 v85, 0x39e9, v63
	v_mul_f16_e32 v62, 0xbbdd, v45
	v_pk_fma_f16 v49, 0x39643836, v35, v59 op_sel:[0,0,1] op_sel_hi:[1,1,0] neg_lo:[0,1,0] neg_hi:[0,1,0]
	v_pk_mul_f16 v56, 0xb4613b76, v43
	v_add_f16_e32 v46, v61, v46
	v_pk_fma_f16 v59, 0x39643836, v35, v59 op_sel:[0,0,1] op_sel_hi:[1,1,0]
	v_mul_f16_e32 v63, 0xbbdd, v63
	v_sub_f16_e32 v51, v57, v51
	v_pk_add_f16 v8, v8, v9
	v_pk_add_f16 v9, v12, v17
	v_bfi_b32 v12, 0xffff, v60, v47
	v_add_f16_e32 v72, v74, v72
	v_add_f16_e32 v74, v110, v77
	;; [unrolled: 1-line block ×3, first 2 shown]
	v_fma_f16 v76, v36, 0x3722, -v76
	v_fmac_f16_e32 v94, 0xbbf7, v30
	v_fmac_f16_e32 v84, 0x3bb2, v33
	v_add_f16_e32 v53, v65, v53
	v_pk_fma_f16 v50, 0xb5c83bb2, v41, v56 op_sel:[0,0,1] op_sel_hi:[1,1,0] neg_lo:[0,1,0] neg_hi:[0,1,0]
	v_pk_mul_f16 v64, 0x37222de8, v44
	v_pk_fma_f16 v56, 0xb5c83bb2, v41, v56 op_sel:[0,0,1] op_sel_hi:[1,1,0]
	v_add_f16_e32 v17, v55, v63
	v_add_f16_e32 v46, v51, v46
	v_pk_add_f16 v6, v8, v6
	v_sub_f16_e32 v8, v62, v52
	v_pk_add_f16 v9, v12, v9
	v_bfi_b32 v12, 0xffff, v59, v49
	v_add_f16_e32 v76, v76, v77
	v_fma_f16 v77, v38, 0xbbdd, -v115
	v_add_f16_sdwa v92, v4, v94 dst_sel:DWORD dst_unused:UNUSED_PAD src0_sel:WORD_1 src1_sel:DWORD
	v_fmac_f16_e32 v95, 0xb1e1, v31
	v_add_f16_e32 v82, v84, v82
	v_fmac_f16_e32 v88, 0x3964, v35
	v_pk_fma_f16 v61, 0xbbf73b29, v42, v64 op_sel:[0,0,1] op_sel_hi:[1,1,0] neg_lo:[0,1,0] neg_hi:[0,1,0]
	v_pk_fma_f16 v64, 0xbbf73b29, v42, v64 op_sel:[0,0,1] op_sel_hi:[1,1,0]
	v_fma_f16 v13, v45, 0x3b76, -v13
	v_add_f16_e32 v17, v17, v53
	v_pk_add_f16 v6, v6, v7
	v_add_f16_e32 v7, v8, v46
	v_pk_add_f16 v9, v12, v9
	v_bfi_b32 v12, 0xffff, v56, v50
	v_fma_f16 v90, v45, 0x3722, -v144
	v_add_f16_e32 v76, v77, v76
	v_fma_f16 v77, v43, 0x2de8, -v123
	v_add_f16_e32 v92, v95, v92
	v_fmac_f16_e32 v97, 0x3bb2, v29
	v_add_f16_e32 v82, v88, v82
	v_fmac_f16_e32 v87, 0xb5c8, v41
	v_pk_add_f16 v65, v4, v58 op_sel:[1,0] op_sel_hi:[0,1]
	v_pk_mul_f16 v58, 0x3b76bacd, v45
	v_lshl_add_u32 v8, v0, 6, v20
	v_pk_add_f16 v6, v6, v34
	v_pack_b32_f16 v7, v7, v17
	v_add_f16_e32 v13, v13, v16
	v_pk_mul_f16 v16, 0xbbdd, v37 op_sel_hi:[0,1]
	v_pk_add_f16 v9, v12, v9
	v_bfi_b32 v12, 0xffff, v64, v61
	v_add_f16_e32 v72, v90, v72
	v_add_f16_e32 v76, v77, v76
	v_fma_f16 v77, v44, 0x3b76, -v125
	v_add_f16_e32 v90, v97, v92
	v_fmac_f16_e32 v99, 0x35c8, v33
	v_fma_f16 v92, v37, 0x2de8, -v96
	v_add_f16_e32 v82, v87, v82
	v_fmac_f16_e32 v18, 0xbbf7, v42
	v_pk_add_f16 v65, v67, v65
	v_pk_fma_f16 v67, 0xb83635c8, v40, v58 op_sel:[0,0,1] op_sel_hi:[1,1,0] neg_lo:[0,1,0] neg_hi:[0,1,0]
	ds_write2_b32 v8, v6, v7 offset1:1
	v_pk_fma_f16 v6, 0xb83635c8, v40, v58 op_sel:[0,0,1] op_sel_hi:[1,1,0]
	v_pk_fma_f16 v7, 0xb1e1, v30, v16 op_sel:[0,0,1] op_sel_hi:[0,1,0] neg_lo:[0,1,0] neg_hi:[0,1,0]
	v_pk_mul_f16 v17, 0x3b76, v39 op_sel_hi:[0,1]
	v_pk_add_f16 v9, v12, v9
	v_pk_fma_f16 v12, 0xb1e1, v30, v16 op_sel:[0,0,1] op_sel_hi:[0,1,0]
	v_add_f16_e32 v76, v77, v76
	v_fma_f16 v77, v45, 0xb8d2, -v113
	v_add_f16_e32 v90, v99, v90
	v_fmac_f16_e32 v102, 0xbb29, v35
	v_add_f16_e32 v92, v4, v92
	v_fma_f16 v94, v39, 0xbbdd, -v98
	v_add_f16_e32 v18, v18, v82
	v_fmac_f16_e32 v89, 0xb836, v40
	v_bfi_b32 v6, 0xffff, v6, v67
	v_pk_add_f16 v7, v4, v7 op_sel:[1,0] op_sel_hi:[0,1]
	v_pk_fma_f16 v16, 0x35c8, v31, v17 op_sel:[0,0,1] op_sel_hi:[0,1,0] neg_lo:[0,1,0] neg_hi:[0,1,0]
	v_pk_mul_f16 v30, 0xbacd, v32 op_sel_hi:[0,1]
	v_pk_add_f16 v4, v4, v12 op_sel:[1,0] op_sel_hi:[0,1]
	v_pk_fma_f16 v12, 0x35c8, v31, v17 op_sel:[0,0,1] op_sel_hi:[0,1,0]
	v_add_f16_e32 v76, v77, v76
	v_add_f16_e32 v77, v102, v90
	;; [unrolled: 1-line block ×3, first 2 shown]
	v_fma_f16 v92, v32, 0xb461, -v101
	v_add_f16_e32 v18, v89, v18
	v_pk_add_f16 v65, v66, v65
	v_pk_add_f16 v6, v6, v9
	v_pk_add_f16 v7, v16, v7
	v_pk_fma_f16 v9, 0xb836, v29, v30 op_sel:[0,0,1] op_sel_hi:[0,1,0] neg_lo:[0,1,0] neg_hi:[0,1,0]
	v_pk_mul_f16 v16, 0x39e9, v36 op_sel_hi:[0,1]
	v_pk_add_f16 v4, v12, v4
	v_pk_fma_f16 v12, 0xb836, v29, v30 op_sel:[0,0,1] op_sel_hi:[0,1,0]
	v_add_f16_e32 v90, v92, v90
	v_fma_f16 v92, v36, 0x3b76, -v93
	v_pk_add_f16 v65, v60, v65
	v_alignbit_b32 v17, v18, v6, 16
	v_pk_add_f16 v7, v9, v7
	v_pk_fma_f16 v9, 0x3964, v33, v16 op_sel:[0,0,1] op_sel_hi:[0,1,0] neg_lo:[0,1,0] neg_hi:[0,1,0]
	v_pk_mul_f16 v18, 0xb8d2, v38 op_sel_hi:[0,1]
	v_pk_add_f16 v4, v12, v4
	v_pk_fma_f16 v12, 0x3964, v33, v16 op_sel:[0,0,1] op_sel_hi:[0,1,0]
	v_fmac_f16_e32 v114, 0xb1e1, v35
	v_fmac_f16_e32 v106, 0xb836, v41
	v_mul_f16_e32 v94, 0xb8d2, v69
	v_add_f16_e32 v90, v92, v90
	v_fma_f16 v92, v38, 0x3722, -v104
	v_fmac_f16_e32 v146, 0xb5c8, v35
	v_pk_add_f16 v65, v59, v65
	v_pack_b32_f16 v6, v13, v6
	v_pk_add_f16 v7, v9, v7
	v_pk_fma_f16 v9, 0xba62, v35, v18 op_sel:[0,0,1] op_sel_hi:[0,1,0] neg_lo:[0,1,0] neg_hi:[0,1,0]
	v_pk_mul_f16 v13, 0x3722, v43 op_sel_hi:[0,1]
	v_pk_add_f16 v4, v12, v4
	v_pk_fma_f16 v12, 0xba62, v35, v18 op_sel:[0,0,1] op_sel_hi:[0,1,0]
	v_add_f16_e32 v48, v68, v48
	v_add_f16_e32 v74, v114, v74
	v_fmac_f16_e32 v119, 0x3bf7, v41
	v_add_f16_e32 v77, v106, v77
	v_fmamk_f16 v86, v42, 0xba62, v94
	v_fmac_f16_e32 v94, 0x3a62, v42
	v_add_f16_e32 v90, v92, v90
	v_fma_f16 v92, v43, 0xbacd, -v100
	v_add_f16_e32 v129, v146, v129
	v_fmac_f16_e32 v143, 0xb1e1, v41
	v_pk_add_f16 v65, v56, v65
	v_mul_f16_e32 v66, 0x3964, v40
	v_pk_add_f16 v7, v9, v7
	v_pk_fma_f16 v9, 0x3b29, v41, v13 op_sel:[0,0,1] op_sel_hi:[0,1,0] neg_lo:[0,1,0] neg_hi:[0,1,0]
	v_pk_mul_f16 v18, 0xb461, v44 op_sel_hi:[0,1]
	v_pk_add_f16 v4, v12, v4
	v_pk_fma_f16 v12, 0x3b29, v41, v13 op_sel:[0,0,1] op_sel_hi:[0,1,0]
	v_add_f16_e32 v48, v47, v48
	v_add_f16_e32 v74, v119, v74
	v_fmac_f16_e32 v122, 0xb5c8, v42
	v_add_f16_e32 v77, v94, v77
	v_fmamk_f16 v84, v40, 0x3964, v85
	v_add_f16_e32 v90, v92, v90
	v_fma_f16 v92, v44, 0xb8d2, -v107
	v_add_f16_e32 v129, v143, v129
	v_fmac_f16_e32 v148, 0x3964, v42
	v_pk_mul_f16 v54, 0xb83635c8, v40
	v_pk_add_f16 v7, v9, v7
	v_pk_fma_f16 v9, 0xbbb2, v42, v18 op_sel:[0,0,1] op_sel_hi:[0,1,0] neg_lo:[0,1,0] neg_hi:[0,1,0]
	v_pk_mul_f16 v29, 0x2de8, v45 op_sel_hi:[0,1]
	v_pk_add_f16 v4, v12, v4
	v_pk_fma_f16 v12, 0xbbb2, v42, v18 op_sel:[0,0,1] op_sel_hi:[0,1,0]
	v_bfi_b32 v30, 0xffff, v66, v65
	v_add_f16_e32 v48, v49, v48
	v_add_f16_e32 v130, v139, v130
	v_fmamk_f16 v139, v44, 0x39e9, v112
	v_add_f16_e32 v74, v122, v74
	v_fmac_f16_e32 v124, 0xba62, v40
	v_add_f16_e32 v77, v84, v77
	v_add_f16_e32 v84, v92, v90
	v_fma_f16 v88, v45, 0x39e9, -v117
	v_fmamk_f16 v141, v40, 0x3bb2, v147
	v_add_f16_e32 v126, v148, v129
	v_fmac_f16_e32 v147, 0xbbb2, v40
	v_fmac_f16_e32 v127, 0x3b29, v40
	v_pk_add_f16 v7, v9, v7
	v_pk_fma_f16 v9, 0x3bf7, v40, v29 op_sel:[0,0,1] op_sel_hi:[0,1,0] neg_lo:[0,1,0] neg_hi:[0,1,0]
	v_pk_add_f16 v4, v12, v4
	v_pk_fma_f16 v12, 0x3bf7, v40, v29 op_sel:[0,0,1] op_sel_hi:[0,1,0]
	v_pack_b32_f16 v29, v86, v58
	v_bfi_b32 v11, 0xffff, v11, v54
	v_pk_add_f16 v30, v85, v30 neg_lo:[0,1] neg_hi:[0,1]
	v_pk_add_f16 v31, v64, v65
	v_add_f16_e32 v48, v50, v48
	v_add_f16_e32 v130, v139, v130
	;; [unrolled: 1-line block ×6, first 2 shown]
	v_pk_add_f16 v7, v9, v7
	v_pk_add_f16 v9, v29, v11
	v_bfi_b32 v11, 0xffff, v30, v31
	v_add_f16_e32 v48, v61, v48
	v_pk_add_f16 v4, v12, v4
	v_add_f16_e32 v118, v141, v118
	v_add_f16_e32 v121, v132, v130
	v_pack_b32_f16 v16, v76, v74
	v_pack_b32_f16 v13, v84, v77
	;; [unrolled: 1-line block ×4, first 2 shown]
	v_pk_add_f16 v9, v11, v9
	v_add_f16_e32 v48, v67, v48
	ds_write2_b32 v8, v6, v17 offset0:2 offset1:3
	ds_write2_b32 v8, v13, v16 offset0:4 offset1:5
	;; [unrolled: 1-line block ×3, first 2 shown]
	v_alignbit_b32 v6, v7, v4, 16
	v_alignbit_b32 v4, v4, v7, 16
	v_pack_b32_f16 v7, v75, v73
	v_pack_b32_f16 v11, v121, v118
	v_pack_b32_f16 v12, v19, v15
	v_alignbit_b32 v10, v10, v9, 16
	v_pack_b32_f16 v9, v14, v9
	v_pack_b32_f16 v5, v5, v48
	v_perm_b32 v13, v21, v1, 0x5040100
	ds_write2_b32 v8, v4, v6 offset0:8 offset1:9
	ds_write2_b32 v8, v11, v7 offset0:10 offset1:11
	ds_write_b32 v8, v12 offset:48
	ds_write2_b32 v8, v9, v10 offset0:13 offset1:14
	ds_write2_b32 v8, v5, v13 offset0:15 offset1:16
.LBB0_13:
	s_or_b32 exec_lo, exec_lo, s1
	v_mov_b32_e32 v4, 0xf0f1
	v_add_nc_u32_e32 v42, 0x2ca, v0
	v_add_nc_u32_e32 v29, 0xcc, v0
	;; [unrolled: 1-line block ×3, first 2 shown]
	v_add_nc_u16 v31, v0, 0x66
	v_add_nc_u32_e32 v33, 0x198, v0
	v_mul_u32_u24_sdwa v46, v42, v4 dst_sel:DWORD dst_unused:UNUSED_PAD src0_sel:WORD_0 src1_sel:DWORD
	v_mul_u32_u24_sdwa v32, v29, v4 dst_sel:DWORD dst_unused:UNUSED_PAD src0_sel:WORD_0 src1_sel:DWORD
	v_add_nc_u32_e32 v18, 0x1fe, v0
	v_add_nc_u32_e32 v43, 0x264, v0
	v_mul_u32_u24_sdwa v35, v30, v4 dst_sel:DWORD dst_unused:UNUSED_PAD src0_sel:WORD_0 src1_sel:DWORD
	v_lshrrev_b32_e32 v49, 20, v46
	v_and_b32_e32 v5, 0xff, v0
	v_and_b32_e32 v34, 0xff, v31
	v_lshrrev_b32_e32 v39, 20, v32
	v_mul_u32_u24_sdwa v36, v33, v4 dst_sel:DWORD dst_unused:UNUSED_PAD src0_sel:WORD_0 src1_sel:DWORD
	v_mul_u32_u24_sdwa v47, v18, v4 dst_sel:DWORD dst_unused:UNUSED_PAD src0_sel:WORD_0 src1_sel:DWORD
	;; [unrolled: 1-line block ×3, first 2 shown]
	v_lshrrev_b32_e32 v51, 20, v35
	v_mul_lo_u16 v4, v49, 17
	v_mul_lo_u16 v40, 0xf1, v5
	;; [unrolled: 1-line block ×4, first 2 shown]
	v_lshrrev_b32_e32 v50, 20, v36
	v_lshrrev_b32_e32 v52, 20, v47
	v_mov_b32_e32 v19, 2
	v_sub_nc_u16 v4, v42, v4
	v_mul_lo_u16 v9, v51, 17
	v_lshrrev_b32_e32 v53, 20, v48
	v_lshrrev_b16 v45, 12, v41
	v_sub_nc_u16 v5, v29, v5
	v_mul_lo_u16 v6, v50, 17
	v_lshrrev_b16 v44, 12, v40
	v_mul_lo_u16 v7, v52, 17
	v_lshlrev_b32_sdwa v54, v19, v4 dst_sel:DWORD dst_unused:UNUSED_PAD src0_sel:DWORD src1_sel:WORD_0
	v_sub_nc_u16 v4, v30, v9
	v_mul_lo_u16 v8, v53, 17
	v_sub_nc_u16 v6, v33, v6
	v_lshlrev_b32_sdwa v59, v19, v5 dst_sel:DWORD dst_unused:UNUSED_PAD src0_sel:DWORD src1_sel:WORD_0
	v_mul_lo_u16 v5, v45, 17
	v_sub_nc_u16 v7, v18, v7
	v_lshlrev_b32_sdwa v60, v19, v4 dst_sel:DWORD dst_unused:UNUSED_PAD src0_sel:DWORD src1_sel:WORD_0
	;; [unrolled: 3-line block ×3, first 2 shown]
	v_sub_nc_u16 v5, v31, v5
	v_lshlrev_b32_sdwa v56, v19, v7 dst_sel:DWORD dst_unused:UNUSED_PAD src0_sel:DWORD src1_sel:WORD_0
	v_sub_nc_u16 v4, v0, v4
	v_lshlrev_b32_sdwa v57, v19, v8 dst_sel:DWORD dst_unused:UNUSED_PAD src0_sel:DWORD src1_sel:WORD_0
	s_waitcnt lgkmcnt(0)
	s_barrier
	buffer_gl0_inv
	s_clause 0x5
	global_load_dword v58, v54, s[8:9]
	global_load_dword v61, v55, s[8:9]
	;; [unrolled: 1-line block ×6, first 2 shown]
	v_lshlrev_b32_sdwa v66, v19, v5 dst_sel:DWORD dst_unused:UNUSED_PAD src0_sel:DWORD src1_sel:BYTE_0
	v_lshlrev_b32_sdwa v67, v19, v4 dst_sel:DWORD dst_unused:UNUSED_PAD src0_sel:DWORD src1_sel:BYTE_0
	s_clause 0x1
	global_load_dword v68, v66, s[8:9]
	global_load_dword v69, v67, s[8:9]
	v_add_nc_u32_e32 v70, 0x1200, v20
	ds_read2_b32 v[4:5], v20 offset1:102
	ds_read2_b32 v[6:7], v28 offset0:48 offset1:150
	ds_read2_b32 v[8:9], v23 offset0:76 offset1:178
	;; [unrolled: 1-line block ×7, first 2 shown]
	v_mov_b32_e32 v71, 0x88
	v_mul_u32_u24_e32 v51, 0x88, v51
	v_mul_u32_u24_e32 v50, 0x88, v50
	v_mul_u32_u24_e32 v52, 0x88, v52
	v_mul_u32_u24_e32 v49, 0x88, v49
	v_mul_u32_u24_e32 v39, 0x88, v39
	v_mul_u32_u24_e32 v53, 0x88, v53
	v_mul_u32_u24_sdwa v45, v45, v71 dst_sel:DWORD dst_unused:UNUSED_PAD src0_sel:WORD_0 src1_sel:DWORD
	v_add3_u32 v51, 0, v51, v60
	v_add3_u32 v50, 0, v50, v55
	;; [unrolled: 1-line block ×7, first 2 shown]
	v_lshrrev_b16 v40, 13, v40
	v_lshrrev_b32_e32 v74, 21, v36
	v_lshrrev_b32_e32 v47, 21, v47
	;; [unrolled: 1-line block ×6, first 2 shown]
	v_mul_lo_u16 v75, v40, 34
	v_lshrrev_b16 v41, 13, v41
	v_mul_lo_u16 v78, v74, 34
	v_mul_lo_u16 v79, v47, 34
	v_mul_lo_u16 v77, v73, 34
	v_mul_lo_u16 v80, v48, 34
	v_mul_lo_u16 v76, v72, 34
	v_mul_lo_u16 v81, v46, 34
	v_mul_u32_u24_sdwa v44, v44, v71 dst_sel:DWORD dst_unused:UNUSED_PAD src0_sel:WORD_0 src1_sel:DWORD
	v_sub_nc_u16 v71, v0, v75
	v_mul_lo_u16 v75, v41, 34
	v_sub_nc_u16 v78, v33, v78
	v_sub_nc_u16 v79, v18, v79
	;; [unrolled: 1-line block ×7, first 2 shown]
	v_add3_u32 v44, 0, v44, v67
	v_lshlrev_b32_sdwa v78, v19, v78 dst_sel:DWORD dst_unused:UNUSED_PAD src0_sel:DWORD src1_sel:WORD_0
	v_lshlrev_b32_sdwa v79, v19, v79 dst_sel:DWORD dst_unused:UNUSED_PAD src0_sel:DWORD src1_sel:WORD_0
	;; [unrolled: 1-line block ×6, first 2 shown]
	s_waitcnt vmcnt(0) lgkmcnt(0)
	s_barrier
	buffer_gl0_inv
	v_cmp_gt_u32_e64 s0, 34, v0
	v_pk_mul_f16 v57, v37, v61 op_sel:[0,1]
	v_pk_mul_f16 v54, v17, v58 op_sel:[0,1]
	;; [unrolled: 1-line block ×6, first 2 shown]
	v_pk_fma_f16 v66, v17, v58, v54 op_sel:[0,0,1] op_sel_hi:[1,1,0] neg_lo:[0,0,1] neg_hi:[0,0,1]
	v_pk_fma_f16 v17, v17, v58, v54 op_sel:[0,0,1] op_sel_hi:[1,0,0]
	v_pk_fma_f16 v54, v16, v63, v55 op_sel:[0,0,1] op_sel_hi:[1,1,0] neg_lo:[0,0,1] neg_hi:[0,0,1]
	v_pk_fma_f16 v16, v16, v63, v55 op_sel:[0,0,1] op_sel_hi:[1,0,0]
	;; [unrolled: 2-line block ×4, first 2 shown]
	v_pk_mul_f16 v60, v69, v6 op_sel:[0,1]
	v_pk_fma_f16 v56, v37, v61, v57 op_sel:[0,0,1] op_sel_hi:[1,1,0] neg_lo:[0,0,1] neg_hi:[0,0,1]
	v_pk_fma_f16 v37, v37, v61, v57 op_sel:[0,0,1] op_sel_hi:[1,0,0]
	v_pk_fma_f16 v57, v64, v11, v59 op_sel:[0,0,1] op_sel_hi:[1,1,0] neg_lo:[0,0,1] neg_hi:[0,0,1]
	v_pk_fma_f16 v11, v64, v11, v59 op_sel:[0,0,1] op_sel_hi:[1,0,0]
	v_pk_mul_f16 v59, v68, v7 op_sel:[0,1]
	v_bfi_b32 v38, 0xffff, v55, v38
	v_pk_fma_f16 v55, v69, v6, v60 op_sel:[0,0,1] op_sel_hi:[1,1,0] neg_lo:[0,0,1] neg_hi:[0,0,1]
	v_pk_fma_f16 v6, v69, v6, v60 op_sel:[0,0,1] op_sel_hi:[1,0,0]
	v_bfi_b32 v16, 0xffff, v54, v16
	v_pk_fma_f16 v54, v68, v7, v59 op_sel:[0,0,1] op_sel_hi:[1,1,0] neg_lo:[0,0,1] neg_hi:[0,0,1]
	v_pk_fma_f16 v7, v68, v7, v59 op_sel:[0,0,1] op_sel_hi:[1,0,0]
	v_bfi_b32 v10, 0xffff, v58, v10
	v_bfi_b32 v6, 0xffff, v55, v6
	;; [unrolled: 1-line block ×6, first 2 shown]
	v_pk_add_f16 v6, v4, v6 neg_lo:[0,1] neg_hi:[0,1]
	v_pk_add_f16 v10, v8, v10 neg_lo:[0,1] neg_hi:[0,1]
	;; [unrolled: 1-line block ×8, first 2 shown]
	v_pk_fma_f16 v4, v4, 2.0, v6 op_sel_hi:[1,0,1] neg_lo:[0,0,1] neg_hi:[0,0,1]
	v_pk_fma_f16 v5, v5, 2.0, v7 op_sel_hi:[1,0,1] neg_lo:[0,0,1] neg_hi:[0,0,1]
	;; [unrolled: 1-line block ×8, first 2 shown]
	ds_write2_b32 v44, v4, v6 offset1:17
	ds_write2_b32 v45, v5, v7 offset1:17
	;; [unrolled: 1-line block ×8, first 2 shown]
	v_lshlrev_b32_sdwa v12, v19, v75 dst_sel:DWORD dst_unused:UNUSED_PAD src0_sel:DWORD src1_sel:BYTE_0
	v_lshlrev_b32_sdwa v8, v19, v71 dst_sel:DWORD dst_unused:UNUSED_PAD src0_sel:DWORD src1_sel:BYTE_0
	s_waitcnt lgkmcnt(0)
	s_barrier
	buffer_gl0_inv
	s_clause 0x7
	global_load_dword v39, v79, s[8:9] offset:68
	global_load_dword v44, v43, s[8:9] offset:68
	;; [unrolled: 1-line block ×8, first 2 shown]
	v_mov_b32_e32 v6, 0x110
	v_mul_u32_u24_e32 v10, 0x110, v72
	ds_read2_b32 v[4:5], v22 offset0:148 offset1:250
	v_mul_u32_u24_e32 v13, 0x110, v73
	v_mul_u32_u24_e32 v14, 0x110, v74
	v_mul_u32_u24_sdwa v9, v40, v6 dst_sel:DWORD dst_unused:UNUSED_PAD src0_sel:WORD_0 src1_sel:DWORD
	v_mul_u32_u24_sdwa v37, v41, v6 dst_sel:DWORD dst_unused:UNUSED_PAD src0_sel:WORD_0 src1_sel:DWORD
	ds_read2_b32 v[6:7], v70 offset0:72 offset1:174
	v_mul_u32_u24_e32 v15, 0x110, v47
	v_mul_u32_u24_e32 v16, 0x110, v48
	v_add3_u32 v40, 0, v9, v8
	ds_read2_b32 v[8:9], v27 offset0:124 offset1:226
	v_add3_u32 v27, 0, v10, v76
	ds_read2_b32 v[10:11], v28 offset0:48 offset1:150
	v_mul_u32_u24_e32 v17, 0x110, v46
	v_add3_u32 v41, 0, v13, v77
	v_add3_u32 v46, 0, v14, v78
	;; [unrolled: 1-line block ×6, first 2 shown]
	ds_read2_b32 v[12:13], v20 offset1:102
	ds_read2_b32 v[14:15], v23 offset0:76 offset1:178
	ds_read2_b32 v[16:17], v26 offset0:152 offset1:254
	;; [unrolled: 1-line block ×3, first 2 shown]
	v_add_nc_u32_e32 v54, 0x600, v20
	s_waitcnt vmcnt(0) lgkmcnt(0)
	s_barrier
	buffer_gl0_inv
	v_pk_mul_f16 v57, v6, v49 op_sel:[0,1]
	v_pk_mul_f16 v56, v7, v39 op_sel:[0,1]
	;; [unrolled: 1-line block ×8, first 2 shown]
	v_pk_fma_f16 v62, v5, v45, v26 op_sel:[0,0,1] op_sel_hi:[1,1,0] neg_lo:[0,0,1] neg_hi:[0,0,1]
	v_pk_fma_f16 v5, v5, v45, v26 op_sel:[0,0,1] op_sel_hi:[1,0,0]
	v_pk_fma_f16 v26, v4, v44, v55 op_sel:[0,0,1] op_sel_hi:[1,1,0] neg_lo:[0,0,1] neg_hi:[0,0,1]
	v_pk_fma_f16 v4, v4, v44, v55 op_sel:[0,0,1] op_sel_hi:[1,0,0]
	;; [unrolled: 2-line block ×8, first 2 shown]
	v_bfi_b32 v5, 0xffff, v62, v5
	v_bfi_b32 v7, 0xffff, v44, v7
	;; [unrolled: 1-line block ×8, first 2 shown]
	v_pk_add_f16 v26, v38, v5 neg_lo:[0,1] neg_hi:[0,1]
	v_pk_add_f16 v5, v17, v7 neg_lo:[0,1] neg_hi:[0,1]
	;; [unrolled: 1-line block ×8, first 2 shown]
	v_pk_fma_f16 v12, v12, 2.0, v9 op_sel_hi:[1,0,1] neg_lo:[0,0,1] neg_hi:[0,0,1]
	v_pk_fma_f16 v13, v13, 2.0, v10 op_sel_hi:[1,0,1] neg_lo:[0,0,1] neg_hi:[0,0,1]
	;; [unrolled: 1-line block ×8, first 2 shown]
	ds_write2_b32 v40, v12, v9 offset1:34
	ds_write2_b32 v48, v13, v10 offset1:34
	;; [unrolled: 1-line block ×8, first 2 shown]
	s_waitcnt lgkmcnt(0)
	s_barrier
	buffer_gl0_inv
	ds_read2_b32 v[4:5], v20 offset1:102
	ds_read2_b32 v[8:9], v54 offset0:24 offset1:160
	ds_read2_b32 v[12:13], v25 offset0:64 offset1:166
	;; [unrolled: 1-line block ×6, first 2 shown]
	ds_read_b32 v25, v20 offset:5984
	v_lshrrev_b32_e32 v22, 16, v26
                                        ; implicit-def: $vgpr24
                                        ; implicit-def: $vgpr23
	s_and_saveexec_b32 s1, s0
	s_cbranch_execz .LBB0_15
; %bb.14:
	ds_read_b32 v26, v20 offset:2040
	ds_read_b32 v1, v20 offset:4216
	;; [unrolled: 1-line block ×3, first 2 shown]
	s_waitcnt lgkmcnt(2)
	v_lshrrev_b32_e32 v22, 16, v26
	s_waitcnt lgkmcnt(1)
	v_lshrrev_b32_e32 v21, 16, v1
	;; [unrolled: 2-line block ×3, first 2 shown]
.LBB0_15:
	s_or_b32 exec_lo, exec_lo, s1
	v_lshrrev_b32_e32 v37, 22, v36
	v_add_nc_u32_e32 v27, 0xffffffbc, v0
	v_cmp_gt_u32_e64 s1, 0x44, v0
	v_mul_lo_u16 v34, 0x79, v34
	v_mov_b32_e32 v39, 3
	v_mul_lo_u16 v36, 0x44, v37
	v_mov_b32_e32 v28, 0
	v_cndmask_b32_e64 v38, v27, v0, s1
	v_lshrrev_b16 v40, 13, v34
	v_lshrrev_b32_e32 v42, 22, v32
	v_sub_nc_u16 v41, v33, v36
	v_lshrrev_b32_e32 v43, 22, v35
	v_lshlrev_b32_e32 v27, 1, v38
	v_mul_lo_u16 v32, 0x44, v40
	v_mul_lo_u16 v34, 0x44, v42
	v_lshlrev_b32_sdwa v33, v39, v41 dst_sel:DWORD dst_unused:UNUSED_PAD src0_sel:DWORD src1_sel:WORD_0
	v_mov_b32_e32 v62, 0x330
	v_lshlrev_b64 v[27:28], 2, v[27:28]
	v_sub_nc_u16 v44, v31, v32
	v_sub_nc_u16 v45, v29, v34
	global_load_dwordx2 v[31:32], v33, s[8:9] offset:204
	v_mul_lo_u16 v33, 0x44, v43
	s_waitcnt lgkmcnt(1)
	v_lshrrev_b32_e32 v52, 16, v17
	v_add_co_u32 v27, s1, s8, v27
	v_add_co_ci_u32_e64 v28, s1, s9, v28, s1
	v_sub_nc_u16 v46, v30, v33
	v_lshlrev_b32_sdwa v29, v39, v44 dst_sel:DWORD dst_unused:UNUSED_PAD src0_sel:DWORD src1_sel:BYTE_0
	v_lshlrev_b32_sdwa v33, v39, v45 dst_sel:DWORD dst_unused:UNUSED_PAD src0_sel:DWORD src1_sel:WORD_0
	global_load_dwordx2 v[27:28], v[27:28], off offset:204
	s_waitcnt lgkmcnt(0)
	v_lshrrev_b32_e32 v53, 16, v25
	v_lshlrev_b32_sdwa v35, v39, v46 dst_sel:DWORD dst_unused:UNUSED_PAD src0_sel:DWORD src1_sel:WORD_0
	s_clause 0x2
	global_load_dwordx2 v[29:30], v29, s[8:9] offset:204
	global_load_dwordx2 v[33:34], v33, s[8:9] offset:204
	;; [unrolled: 1-line block ×3, first 2 shown]
	v_mul_u32_u24_e32 v42, 0x330, v42
	v_mul_u32_u24_e32 v37, 0x330, v37
	v_mul_u32_u24_sdwa v40, v40, v62 dst_sel:DWORD dst_unused:UNUSED_PAD src0_sel:WORD_0 src1_sel:DWORD
	v_lshlrev_b32_sdwa v45, v19, v45 dst_sel:DWORD dst_unused:UNUSED_PAD src0_sel:DWORD src1_sel:WORD_0
	v_lshlrev_b32_sdwa v46, v19, v46 dst_sel:DWORD dst_unused:UNUSED_PAD src0_sel:DWORD src1_sel:WORD_0
	;; [unrolled: 1-line block ×3, first 2 shown]
	v_lshlrev_b32_sdwa v19, v19, v44 dst_sel:DWORD dst_unused:UNUSED_PAD src0_sel:DWORD src1_sel:BYTE_0
	v_cmp_lt_u32_e64 s1, 0x43, v0
	v_lshrrev_b32_e32 v54, 16, v9
	v_lshrrev_b32_e32 v55, 16, v12
	v_add3_u32 v42, 0, v42, v45
	v_add3_u32 v37, 0, v37, v41
	;; [unrolled: 1-line block ×3, first 2 shown]
	v_lshrrev_b32_e32 v56, 16, v14
	v_lshrrev_b32_e32 v57, 16, v13
	v_cndmask_b32_e64 v61, 0, 0x330, s1
	v_mul_u32_u24_e32 v43, 0x330, v43
	v_lshlrev_b32_e32 v38, 2, v38
	v_lshrrev_b32_e32 v58, 16, v15
	v_lshrrev_b32_e32 v59, 16, v10
	;; [unrolled: 1-line block ×4, first 2 shown]
	v_add3_u32 v38, 0, v61, v38
	v_add3_u32 v43, 0, v43, v46
	v_lshrrev_b32_e32 v51, 16, v8
	v_lshrrev_b32_e32 v39, 16, v4
	v_lshrrev_b32_e32 v47, 16, v5
	v_lshrrev_b32_e32 v48, 16, v6
	v_lshrrev_b32_e32 v49, 16, v7
	s_waitcnt vmcnt(0)
	s_barrier
	buffer_gl0_inv
	v_mul_f16_sdwa v40, v52, v31 dst_sel:DWORD dst_unused:UNUSED_PAD src0_sel:DWORD src1_sel:WORD_1
	v_mul_f16_sdwa v41, v17, v31 dst_sel:DWORD dst_unused:UNUSED_PAD src0_sel:DWORD src1_sel:WORD_1
	;; [unrolled: 1-line block ×4, first 2 shown]
	v_fma_f16 v17, v17, v31, -v40
	v_fmac_f16_e32 v41, v52, v31
	v_fma_f16 v25, v25, v32, -v44
	v_fmac_f16_e32 v45, v53, v32
	v_mul_f16_sdwa v31, v27, v54 dst_sel:DWORD dst_unused:UNUSED_PAD src0_sel:WORD_1 src1_sel:DWORD
	v_mul_f16_sdwa v32, v27, v9 dst_sel:DWORD dst_unused:UNUSED_PAD src0_sel:WORD_1 src1_sel:DWORD
	;; [unrolled: 1-line block ×14, first 2 shown]
	v_mul_f16_sdwa v68, v50, v36 dst_sel:DWORD dst_unused:UNUSED_PAD src0_sel:DWORD src1_sel:WORD_1
	v_mul_f16_sdwa v69, v11, v36 dst_sel:DWORD dst_unused:UNUSED_PAD src0_sel:DWORD src1_sel:WORD_1
	v_fma_f16 v9, v27, v9, -v31
	v_fmac_f16_e32 v32, v27, v54
	v_fma_f16 v12, v28, v12, -v40
	v_fmac_f16_e32 v44, v28, v55
	;; [unrolled: 2-line block ×4, first 2 shown]
	v_add_f16_e32 v73, v51, v41
	v_fma_f16 v15, v33, v15, -v62
	v_fmac_f16_e32 v63, v33, v58
	v_fma_f16 v10, v34, v10, -v64
	v_fmac_f16_e32 v65, v34, v59
	v_add_f16_e32 v70, v8, v17
	v_sub_f16_e32 v72, v41, v45
	v_add_f16_e32 v41, v41, v45
	v_fma_f16 v16, v35, v16, -v66
	v_fmac_f16_e32 v67, v35, v60
	v_fma_f16 v11, v11, v36, -v68
	v_fmac_f16_e32 v69, v50, v36
	v_add_f16_e32 v29, v9, v12
	v_sub_f16_e32 v30, v32, v44
	v_add_f16_e32 v31, v39, v32
	v_add_f16_e32 v32, v32, v44
	;; [unrolled: 1-line block ×5, first 2 shown]
	v_sub_f16_e32 v35, v52, v61
	v_add_f16_e32 v36, v47, v52
	v_add_f16_e32 v45, v15, v10
	;; [unrolled: 1-line block ×4, first 2 shown]
	v_sub_f16_e32 v17, v17, v25
	v_add_f16_e32 v25, v70, v25
	v_fmac_f16_e32 v51, -0.5, v41
	v_add_f16_e32 v28, v4, v9
	v_sub_f16_e32 v9, v9, v12
	v_add_f16_e32 v54, v16, v11
	v_add_f16_e32 v57, v67, v69
	v_fma_f16 v4, -0.5, v29, v4
	v_fmac_f16_e32 v39, -0.5, v32
	v_add_f16_e32 v33, v5, v14
	v_sub_f16_e32 v14, v14, v13
	v_fmac_f16_e32 v5, -0.5, v34
	v_fmac_f16_e32 v47, -0.5, v40
	v_add_f16_e32 v41, v6, v15
	v_sub_f16_e32 v46, v63, v65
	v_add_f16_e32 v50, v48, v63
	v_sub_f16_e32 v15, v15, v10
	v_fma_f16 v6, -0.5, v45, v6
	v_fmac_f16_e32 v48, -0.5, v52
	v_fmac_f16_e32 v8, -0.5, v71
	v_add_f16_e32 v53, v7, v16
	v_sub_f16_e32 v55, v67, v69
	v_add_f16_e32 v56, v49, v67
	v_sub_f16_e32 v16, v16, v11
	v_fmamk_f16 v59, v17, 0xbaee, v51
	v_fmac_f16_e32 v51, 0x3aee, v17
	v_pack_b32_f16 v17, v25, v27
	v_add_f16_e32 v12, v28, v12
	v_add_f16_e32 v25, v31, v44
	v_fmac_f16_e32 v7, -0.5, v54
	v_fmac_f16_e32 v49, -0.5, v57
	v_fmamk_f16 v32, v30, 0x3aee, v4
	v_fmac_f16_e32 v4, 0xbaee, v30
	v_fmamk_f16 v30, v9, 0xbaee, v39
	v_fmac_f16_e32 v39, 0x3aee, v9
	v_add_f16_e32 v13, v33, v13
	v_add_f16_e32 v27, v36, v61
	v_fmamk_f16 v9, v35, 0x3aee, v5
	v_fmamk_f16 v33, v14, 0xbaee, v47
	v_fmac_f16_e32 v5, 0xbaee, v35
	v_fmac_f16_e32 v47, 0x3aee, v14
	v_add_f16_e32 v10, v41, v10
	v_add_f16_e32 v28, v50, v65
	v_fmamk_f16 v14, v46, 0x3aee, v6
	v_fmamk_f16 v34, v15, 0xbaee, v48
	;; [unrolled: 1-line block ×3, first 2 shown]
	v_fmac_f16_e32 v8, 0xbaee, v72
	v_add_f16_e32 v11, v53, v11
	v_add_f16_e32 v29, v56, v69
	v_fmac_f16_e32 v6, 0xbaee, v46
	v_fmac_f16_e32 v48, 0x3aee, v15
	v_fmamk_f16 v15, v55, 0x3aee, v7
	v_fmac_f16_e32 v7, 0xbaee, v55
	v_fmamk_f16 v35, v16, 0xbaee, v49
	v_fmac_f16_e32 v49, 0x3aee, v16
	v_pack_b32_f16 v12, v12, v25
	v_pack_b32_f16 v16, v32, v30
	;; [unrolled: 1-line block ×14, first 2 shown]
	ds_write2_b32 v38, v12, v16 offset1:68
	ds_write_b32 v38, v4 offset:544
	ds_write2_b32 v19, v13, v9 offset1:68
	ds_write_b32 v19, v5 offset:544
	;; [unrolled: 2-line block ×5, first 2 shown]
	s_and_saveexec_b32 s1, s0
	s_cbranch_execz .LBB0_17
; %bb.16:
	v_mov_b32_e32 v4, 0xf0f1
	v_mul_u32_u24_sdwa v4, v18, v4 dst_sel:DWORD dst_unused:UNUSED_PAD src0_sel:WORD_0 src1_sel:DWORD
	v_lshrrev_b32_e32 v4, 22, v4
	v_mul_lo_u16 v4, 0x44, v4
	v_sub_nc_u16 v4, v18, v4
	v_and_b32_e32 v6, 0xffff, v4
	v_lshlrev_b32_e32 v4, 3, v6
	global_load_dwordx2 v[4:5], v4, s[8:9] offset:204
	s_waitcnt vmcnt(0)
	v_mul_f16_sdwa v7, v23, v5 dst_sel:DWORD dst_unused:UNUSED_PAD src0_sel:DWORD src1_sel:WORD_1
	v_mul_f16_sdwa v8, v1, v4 dst_sel:DWORD dst_unused:UNUSED_PAD src0_sel:DWORD src1_sel:WORD_1
	;; [unrolled: 1-line block ×4, first 2 shown]
	v_fmac_f16_e32 v7, v24, v5
	v_fmac_f16_e32 v8, v21, v4
	v_fma_f16 v1, v1, v4, -v9
	v_fma_f16 v4, v23, v5, -v10
	v_lshl_add_u32 v5, v6, 2, 0
	v_add_f16_e32 v6, v8, v7
	v_add_f16_e32 v9, v22, v8
	;; [unrolled: 1-line block ×4, first 2 shown]
	v_sub_f16_e32 v1, v1, v4
	v_fmac_f16_e32 v22, -0.5, v6
	v_sub_f16_e32 v6, v8, v7
	v_fmac_f16_e32 v26, -0.5, v10
	v_add_f16_e32 v7, v9, v7
	v_add_f16_e32 v4, v11, v4
	v_fmamk_f16 v8, v1, 0x3aee, v22
	v_fmac_f16_e32 v22, 0xbaee, v1
	v_fmamk_f16 v1, v6, 0xbaee, v26
	v_fmac_f16_e32 v26, 0x3aee, v6
	v_add_nc_u32_e32 v6, 0x1400, v5
	v_pack_b32_f16 v4, v4, v7
	v_pack_b32_f16 v1, v1, v8
	;; [unrolled: 1-line block ×3, first 2 shown]
	ds_write2_b32 v6, v4, v7 offset0:148 offset1:216
	ds_write_b32 v5, v1 offset:6256
.LBB0_17:
	s_or_b32 exec_lo, exec_lo, s1
	v_mul_u32_u24_e32 v1, 7, v0
	s_waitcnt lgkmcnt(0)
	s_barrier
	buffer_gl0_inv
	v_add_nc_u32_e32 v36, 0xe00, v20
	v_lshlrev_b32_e32 v1, 2, v1
	v_add_nc_u32_e32 v37, 0x1200, v20
	v_add_nc_u32_e32 v38, 0x1400, v20
	;; [unrolled: 1-line block ×4, first 2 shown]
	s_clause 0x1
	global_load_dwordx4 v[4:7], v1, s[8:9] offset:748
	global_load_dwordx3 v[12:14], v1, s[8:9] offset:764
	v_add_co_u32 v1, s0, s8, v1
	v_add_co_ci_u32_e64 v8, null, s9, 0, s0
	v_add_nc_u32_e32 v40, 0xc00, v20
	v_add_co_u32 v15, s0, 0xb28, v1
	v_add_co_ci_u32_e64 v16, s0, 0, v8, s0
	v_add_nc_u32_e32 v1, 0x200, v20
	s_add_u32 s1, s8, 0x193c
	s_clause 0x1
	global_load_dwordx4 v[8:11], v[15:16], off offset:748
	global_load_dwordx3 v[15:17], v[15:16], off offset:764
	ds_read2_b32 v[18:19], v20 offset1:102
	ds_read2_b32 v[21:22], v36 offset0:124 offset1:226
	ds_read2_b32 v[23:24], v37 offset0:72 offset1:174
	;; [unrolled: 1-line block ×7, first 2 shown]
	s_waitcnt vmcnt(0) lgkmcnt(0)
	s_barrier
	buffer_gl0_inv
	s_addc_u32 s4, s9, 0
	s_mov_b32 s5, exec_lo
	v_lshrrev_b32_e32 v43, 16, v21
	v_lshrrev_b32_e32 v44, 16, v23
	;; [unrolled: 1-line block ×16, first 2 shown]
	v_mul_f16_sdwa v57, v4, v52 dst_sel:DWORD dst_unused:UNUSED_PAD src0_sel:WORD_1 src1_sel:DWORD
	v_mul_f16_sdwa v58, v4, v27 dst_sel:DWORD dst_unused:UNUSED_PAD src0_sel:WORD_1 src1_sel:DWORD
	v_mul_f16_sdwa v59, v5, v54 dst_sel:DWORD dst_unused:UNUSED_PAD src0_sel:WORD_1 src1_sel:DWORD
	v_mul_f16_sdwa v60, v5, v29 dst_sel:DWORD dst_unused:UNUSED_PAD src0_sel:WORD_1 src1_sel:DWORD
	v_mul_f16_sdwa v61, v6, v55 dst_sel:DWORD dst_unused:UNUSED_PAD src0_sel:WORD_1 src1_sel:DWORD
	v_mul_f16_sdwa v62, v6, v31 dst_sel:DWORD dst_unused:UNUSED_PAD src0_sel:WORD_1 src1_sel:DWORD
	v_mul_f16_sdwa v63, v7, v56 dst_sel:DWORD dst_unused:UNUSED_PAD src0_sel:WORD_1 src1_sel:DWORD
	v_mul_f16_sdwa v64, v7, v33 dst_sel:DWORD dst_unused:UNUSED_PAD src0_sel:WORD_1 src1_sel:DWORD
	v_mul_f16_sdwa v65, v43, v12 dst_sel:DWORD dst_unused:UNUSED_PAD src0_sel:DWORD src1_sel:WORD_1
	v_mul_f16_sdwa v66, v21, v12 dst_sel:DWORD dst_unused:UNUSED_PAD src0_sel:DWORD src1_sel:WORD_1
	;; [unrolled: 1-line block ×6, first 2 shown]
	v_fma_f16 v27, v4, v27, -v57
	v_fmac_f16_e32 v58, v4, v52
	v_fma_f16 v4, v5, v29, -v59
	v_fmac_f16_e32 v60, v5, v54
	;; [unrolled: 2-line block ×7, first 2 shown]
	v_mul_f16_sdwa v14, v46, v8 dst_sel:DWORD dst_unused:UNUSED_PAD src0_sel:DWORD src1_sel:WORD_1
	v_mul_f16_sdwa v21, v28, v8 dst_sel:DWORD dst_unused:UNUSED_PAD src0_sel:DWORD src1_sel:WORD_1
	;; [unrolled: 1-line block ×14, first 2 shown]
	v_sub_f16_e32 v6, v18, v6
	v_sub_f16_e32 v57, v41, v64
	;; [unrolled: 1-line block ×8, first 2 shown]
	v_fma_f16 v14, v28, v8, -v14
	v_fmac_f16_e32 v21, v46, v8
	v_fma_f16 v8, v30, v9, -v23
	v_fmac_f16_e32 v25, v47, v9
	;; [unrolled: 2-line block ×7, first 2 shown]
	v_fma_f16 v4, v4, 2.0, -v12
	v_fma_f16 v23, v27, 2.0, -v7
	;; [unrolled: 1-line block ×3, first 2 shown]
	v_sub_f16_e32 v27, v6, v59
	v_add_f16_e32 v12, v57, v12
	v_sub_f16_e32 v28, v7, v63
	v_add_f16_e32 v13, v61, v13
	v_fma_f16 v17, v18, 2.0, -v6
	v_fma_f16 v18, v41, 2.0, -v57
	;; [unrolled: 1-line block ×3, first 2 shown]
	v_fmamk_f16 v32, v28, 0x39a8, v27
	v_fmamk_f16 v33, v13, 0x39a8, v12
	v_sub_f16_e32 v10, v19, v10
	v_sub_f16_e32 v34, v42, v43
	;; [unrolled: 1-line block ×8, first 2 shown]
	v_fma_f16 v24, v58, 2.0, -v61
	v_fma_f16 v26, v62, 2.0, -v63
	v_sub_f16_e32 v22, v18, v22
	v_fma_f16 v6, v6, 2.0, -v27
	v_fma_f16 v29, v57, 2.0, -v12
	v_sub_f16_e32 v5, v23, v5
	v_fma_f16 v7, v7, 2.0, -v28
	v_fma_f16 v30, v61, 2.0, -v13
	v_fmac_f16_e32 v32, 0xb9a8, v13
	v_fmac_f16_e32 v33, 0x39a8, v28
	v_fma_f16 v13, v19, 2.0, -v10
	v_fma_f16 v19, v42, 2.0, -v34
	;; [unrolled: 1-line block ×8, first 2 shown]
	v_sub_f16_e32 v4, v17, v4
	v_sub_f16_e32 v26, v24, v26
	v_fma_f16 v23, v23, 2.0, -v5
	v_fmamk_f16 v45, v7, 0xb9a8, v6
	v_fmamk_f16 v46, v30, 0xb9a8, v29
	v_add_f16_e32 v5, v22, v5
	v_sub_f16_e32 v31, v10, v41
	v_add_f16_e32 v15, v34, v15
	v_sub_f16_e32 v41, v11, v44
	;; [unrolled: 2-line block ×3, first 2 shown]
	v_sub_f16_e32 v25, v19, v25
	v_sub_f16_e32 v9, v14, v9
	;; [unrolled: 1-line block ×3, first 2 shown]
	v_fma_f16 v17, v17, 2.0, -v4
	v_fma_f16 v18, v18, 2.0, -v22
	;; [unrolled: 1-line block ×3, first 2 shown]
	v_sub_f16_e32 v26, v4, v26
	v_fmac_f16_e32 v45, 0xb9a8, v30
	v_fmac_f16_e32 v46, 0x39a8, v7
	v_fma_f16 v7, v22, 2.0, -v5
	v_fma_f16 v22, v27, 2.0, -v32
	;; [unrolled: 1-line block ×6, first 2 shown]
	v_fmamk_f16 v34, v41, 0x39a8, v31
	v_fmamk_f16 v42, v16, 0x39a8, v15
	v_fma_f16 v13, v13, 2.0, -v8
	v_fma_f16 v19, v19, 2.0, -v25
	;; [unrolled: 1-line block ×4, first 2 shown]
	v_sub_f16_e32 v23, v17, v23
	v_sub_f16_e32 v24, v18, v24
	v_fma_f16 v4, v4, 2.0, -v26
	v_fma_f16 v12, v12, 2.0, -v33
	v_pack_b32_f16 v5, v26, v5
	v_pack_b32_f16 v26, v32, v33
	v_fmamk_f16 v32, v11, 0xb9a8, v10
	v_fmamk_f16 v33, v30, 0xb9a8, v27
	v_sub_f16_e32 v28, v8, v28
	v_add_f16_e32 v9, v25, v9
	v_fmac_f16_e32 v34, 0xb9a8, v16
	v_fmac_f16_e32 v42, 0x39a8, v41
	v_sub_f16_e32 v14, v13, v14
	v_sub_f16_e32 v21, v19, v21
	v_fma_f16 v17, v17, 2.0, -v23
	v_fma_f16 v18, v18, 2.0, -v24
	v_fmac_f16_e32 v32, 0xb9a8, v30
	v_fmac_f16_e32 v33, 0x39a8, v11
	v_fma_f16 v8, v8, 2.0, -v28
	v_fma_f16 v11, v25, 2.0, -v9
	v_pack_b32_f16 v4, v4, v7
	v_pack_b32_f16 v7, v22, v12
	v_fma_f16 v22, v31, 2.0, -v34
	v_fma_f16 v15, v15, 2.0, -v42
	v_pack_b32_f16 v9, v28, v9
	v_fma_f16 v13, v13, 2.0, -v14
	v_fma_f16 v19, v19, 2.0, -v21
	;; [unrolled: 1-line block ×4, first 2 shown]
	v_pack_b32_f16 v12, v23, v24
	v_pack_b32_f16 v17, v17, v18
	;; [unrolled: 1-line block ×3, first 2 shown]
	v_fma_f16 v10, v10, 2.0, -v32
	v_fma_f16 v23, v27, 2.0, -v33
	v_pack_b32_f16 v8, v8, v11
	v_pack_b32_f16 v11, v22, v15
	;; [unrolled: 1-line block ×5, first 2 shown]
	ds_write2_b32 v37, v5, v9 offset0:72 offset1:174
	ds_write2_b32 v38, v26, v18 offset0:148 offset1:250
	v_pack_b32_f16 v5, v13, v19
	v_pack_b32_f16 v6, v6, v29
	v_pack_b32_f16 v9, v10, v23
	ds_write2_b32 v35, v4, v8 offset0:152 offset1:254
	ds_write2_b32 v39, v7, v11 offset0:100 offset1:202
	;; [unrolled: 1-line block ×4, first 2 shown]
	ds_write2_b32 v20, v17, v5 offset1:102
	ds_write2_b32 v1, v6, v9 offset0:76 offset1:178
	s_waitcnt lgkmcnt(0)
	s_barrier
	buffer_gl0_inv
	ds_read_b32 v10, v20
	v_lshlrev_b32_e32 v1, 2, v0
                                        ; implicit-def: $vgpr9
                                        ; implicit-def: $vgpr8
                                        ; implicit-def: $vgpr7
                                        ; implicit-def: $vgpr4_vgpr5
	v_sub_nc_u32_e32 v6, 0, v1
	v_cmpx_ne_u32_e32 0, v0
	s_xor_b32 s5, exec_lo, s5
	s_cbranch_execz .LBB0_19
; %bb.18:
	v_mov_b32_e32 v1, 0
	v_lshlrev_b64 v[4:5], 2, v[0:1]
	v_add_co_u32 v4, s0, s1, v4
	v_add_co_ci_u32_e64 v5, s0, s4, v5, s0
	global_load_dword v4, v[4:5], off
	ds_read_b32 v5, v6 offset:6528
	s_waitcnt lgkmcnt(0)
	v_pk_add_f16 v7, v10, v5 neg_lo:[0,1] neg_hi:[0,1]
	v_pk_add_f16 v5, v5, v10
                                        ; implicit-def: $vgpr10
	v_bfi_b32 v8, 0xffff, v7, v5
	v_bfi_b32 v5, 0xffff, v5, v7
	v_pk_mul_f16 v8, v8, 0.5 op_sel_hi:[1,0]
	v_pk_mul_f16 v9, v5, 0.5 op_sel_hi:[1,0]
	s_waitcnt vmcnt(0)
	v_pk_mul_f16 v7, v4, v8 op_sel:[1,0]
	v_pk_mul_f16 v4, v4, v8 op_sel_hi:[0,1]
	v_pk_fma_f16 v5, v5, 0.5, v7 op_sel_hi:[1,0,1]
	v_sub_f16_e32 v8, v9, v7
	v_sub_f16_sdwa v7, v7, v9 dst_sel:DWORD dst_unused:UNUSED_PAD src0_sel:WORD_1 src1_sel:WORD_1
	v_pk_add_f16 v9, v5, v4 op_sel:[0,1] op_sel_hi:[1,0]
	v_pk_add_f16 v5, v5, v4 op_sel:[0,1] op_sel_hi:[1,0] neg_lo:[0,1] neg_hi:[0,1]
	v_sub_f16_sdwa v8, v8, v4 dst_sel:DWORD dst_unused:UNUSED_PAD src0_sel:DWORD src1_sel:WORD_1
	v_sub_f16_e32 v7, v7, v4
	v_bfi_b32 v9, 0xffff, v9, v5
	v_mov_b32_e32 v5, v1
	v_mov_b32_e32 v4, v0
.LBB0_19:
	s_andn2_saveexec_b32 s0, s5
	s_cbranch_execz .LBB0_21
; %bb.20:
	v_mov_b32_e32 v7, 0
	s_waitcnt lgkmcnt(0)
	v_alignbit_b32 v4, s0, v10, 16
	v_sub_f16_sdwa v8, v10, v10 dst_sel:DWORD dst_unused:UNUSED_PAD src0_sel:DWORD src1_sel:WORD_1
	ds_read_u16 v1, v7 offset:3266
	v_pk_add_f16 v9, v4, v10
	v_mov_b32_e32 v4, 0
	v_mov_b32_e32 v5, 0
	v_pack_b32_f16 v9, v9, 0
	s_waitcnt lgkmcnt(0)
	v_xor_b32_e32 v1, 0x8000, v1
	ds_write_b16 v7, v1 offset:3266
.LBB0_21:
	s_or_b32 exec_lo, exec_lo, s0
	v_lshlrev_b64 v[4:5], 2, v[4:5]
	s_waitcnt lgkmcnt(0)
	v_add_co_u32 v10, s0, s1, v4
	v_add_co_ci_u32_e64 v11, s0, s4, v5, s0
	s_clause 0x4
	global_load_dword v1, v[10:11], off offset:408
	global_load_dword v12, v[10:11], off offset:816
	global_load_dword v13, v[10:11], off offset:1224
	global_load_dword v14, v[10:11], off offset:1632
	global_load_dword v15, v[10:11], off offset:2040
	ds_write_b16 v6, v7 offset:6530
	ds_write_b32 v20, v9
	ds_write_b16 v6, v8 offset:6528
	v_add_co_u32 v7, s0, 0x800, v10
	v_add_co_ci_u32_e64 v8, s0, 0, v11, s0
	ds_read_b32 v9, v20 offset:408
	ds_read_b32 v16, v6 offset:6120
	s_clause 0x1
	global_load_dword v10, v[7:8], off offset:400
	global_load_dword v7, v[7:8], off offset:808
	s_waitcnt lgkmcnt(0)
	v_pk_add_f16 v11, v9, v16 neg_lo:[0,1] neg_hi:[0,1]
	v_pk_add_f16 v9, v9, v16
	v_bfi_b32 v16, 0xffff, v11, v9
	v_bfi_b32 v9, 0xffff, v9, v11
	v_pk_mul_f16 v16, v16, 0.5 op_sel_hi:[1,0]
	v_pk_mul_f16 v11, v9, 0.5 op_sel_hi:[1,0]
	s_waitcnt vmcnt(6)
	v_pk_mul_f16 v8, v1, v16 op_sel:[1,0]
	v_pk_mul_f16 v1, v1, v16 op_sel_hi:[0,1]
	v_pk_fma_f16 v9, v9, 0.5, v8 op_sel_hi:[1,0,1]
	v_sub_f16_sdwa v16, v8, v11 dst_sel:DWORD dst_unused:UNUSED_PAD src0_sel:WORD_1 src1_sel:WORD_1
	v_sub_f16_e32 v8, v11, v8
	v_pk_add_f16 v17, v9, v1 op_sel:[0,1] op_sel_hi:[1,0]
	v_pk_add_f16 v9, v9, v1 op_sel:[0,1] op_sel_hi:[1,0] neg_lo:[0,1] neg_hi:[0,1]
	v_sub_f16_e32 v11, v16, v1
	v_sub_f16_sdwa v1, v8, v1 dst_sel:DWORD dst_unused:UNUSED_PAD src0_sel:DWORD src1_sel:WORD_1
	v_bfi_b32 v9, 0xffff, v17, v9
	ds_write_b16 v6, v11 offset:6122
	ds_write_b32 v20, v9 offset:408
	ds_write_b16 v6, v1 offset:6120
	ds_read_b32 v1, v20 offset:816
	ds_read_b32 v8, v6 offset:5712
	s_waitcnt lgkmcnt(0)
	v_pk_add_f16 v9, v1, v8 neg_lo:[0,1] neg_hi:[0,1]
	v_pk_add_f16 v1, v1, v8
	v_bfi_b32 v8, 0xffff, v9, v1
	v_bfi_b32 v1, 0xffff, v1, v9
	v_pk_mul_f16 v8, v8, 0.5 op_sel_hi:[1,0]
	v_pk_mul_f16 v11, v1, 0.5 op_sel_hi:[1,0]
	s_waitcnt vmcnt(5)
	v_pk_mul_f16 v9, v12, v8 op_sel:[1,0]
	v_pk_mul_f16 v8, v12, v8 op_sel_hi:[0,1]
	v_pk_fma_f16 v1, v1, 0.5, v9 op_sel_hi:[1,0,1]
	v_sub_f16_sdwa v12, v9, v11 dst_sel:DWORD dst_unused:UNUSED_PAD src0_sel:WORD_1 src1_sel:WORD_1
	v_sub_f16_e32 v9, v11, v9
	v_pk_add_f16 v16, v1, v8 op_sel:[0,1] op_sel_hi:[1,0]
	v_pk_add_f16 v1, v1, v8 op_sel:[0,1] op_sel_hi:[1,0] neg_lo:[0,1] neg_hi:[0,1]
	v_sub_f16_e32 v11, v12, v8
	v_sub_f16_sdwa v8, v9, v8 dst_sel:DWORD dst_unused:UNUSED_PAD src0_sel:DWORD src1_sel:WORD_1
	v_bfi_b32 v1, 0xffff, v16, v1
	ds_write_b16 v6, v11 offset:5714
	ds_write_b32 v20, v1 offset:816
	ds_write_b16 v6, v8 offset:5712
	ds_read_b32 v1, v20 offset:1224
	ds_read_b32 v8, v6 offset:5304
	;; [unrolled: 23-line block ×4, first 2 shown]
	s_waitcnt lgkmcnt(0)
	v_pk_add_f16 v9, v1, v8 neg_lo:[0,1] neg_hi:[0,1]
	v_pk_add_f16 v1, v1, v8
	v_bfi_b32 v8, 0xffff, v9, v1
	v_bfi_b32 v1, 0xffff, v1, v9
	v_pk_mul_f16 v8, v8, 0.5 op_sel_hi:[1,0]
	v_pk_mul_f16 v1, v1, 0.5 op_sel_hi:[1,0]
	s_waitcnt vmcnt(2)
	v_pk_mul_f16 v11, v15, v8 op_sel_hi:[0,1]
	v_pk_fma_f16 v9, v15, v8, v1 op_sel:[1,0,0]
	v_pk_fma_f16 v12, v15, v8, v1 op_sel:[1,0,0] neg_lo:[1,0,0] neg_hi:[1,0,0]
	v_pk_fma_f16 v1, v15, v8, v1 op_sel:[1,0,0] neg_lo:[0,0,1] neg_hi:[0,0,1]
	v_pk_add_f16 v8, v9, v11 op_sel:[0,1] op_sel_hi:[1,0]
	v_pk_add_f16 v9, v9, v11 op_sel:[0,1] op_sel_hi:[1,0] neg_lo:[0,1] neg_hi:[0,1]
	v_pk_add_f16 v12, v12, v11 op_sel:[0,1] op_sel_hi:[1,0] neg_lo:[0,1] neg_hi:[0,1]
	;; [unrolled: 1-line block ×3, first 2 shown]
	v_bfi_b32 v8, 0xffff, v8, v9
	v_bfi_b32 v1, 0xffff, v12, v1
	ds_write_b32 v20, v8 offset:2040
	ds_write_b32 v6, v1 offset:4488
	ds_read_b32 v1, v20 offset:2448
	ds_read_b32 v8, v6 offset:4080
	s_waitcnt lgkmcnt(0)
	v_pk_add_f16 v9, v1, v8 neg_lo:[0,1] neg_hi:[0,1]
	v_pk_add_f16 v1, v1, v8
	v_bfi_b32 v8, 0xffff, v9, v1
	v_bfi_b32 v1, 0xffff, v1, v9
	v_pk_mul_f16 v8, v8, 0.5 op_sel_hi:[1,0]
	v_pk_mul_f16 v11, v1, 0.5 op_sel_hi:[1,0]
	s_waitcnt vmcnt(1)
	v_pk_mul_f16 v9, v10, v8 op_sel:[1,0]
	v_pk_mul_f16 v8, v10, v8 op_sel_hi:[0,1]
	v_pk_fma_f16 v1, v1, 0.5, v9 op_sel_hi:[1,0,1]
	v_sub_f16_sdwa v10, v9, v11 dst_sel:DWORD dst_unused:UNUSED_PAD src0_sel:WORD_1 src1_sel:WORD_1
	v_sub_f16_e32 v9, v11, v9
	v_pk_add_f16 v12, v1, v8 op_sel:[0,1] op_sel_hi:[1,0]
	v_pk_add_f16 v1, v1, v8 op_sel:[0,1] op_sel_hi:[1,0] neg_lo:[0,1] neg_hi:[0,1]
	v_sub_f16_e32 v10, v10, v8
	v_sub_f16_sdwa v8, v9, v8 dst_sel:DWORD dst_unused:UNUSED_PAD src0_sel:DWORD src1_sel:WORD_1
	v_bfi_b32 v1, 0xffff, v12, v1
	ds_write_b16 v6, v10 offset:4082
	ds_write_b32 v20, v1 offset:2448
	ds_write_b16 v6, v8 offset:4080
	ds_read_b32 v1, v20 offset:2856
	ds_read_b32 v8, v6 offset:3672
	s_waitcnt lgkmcnt(0)
	v_pk_add_f16 v9, v1, v8 neg_lo:[0,1] neg_hi:[0,1]
	v_pk_add_f16 v1, v1, v8
	v_bfi_b32 v8, 0xffff, v9, v1
	v_bfi_b32 v1, 0xffff, v1, v9
	v_pk_mul_f16 v8, v8, 0.5 op_sel_hi:[1,0]
	v_pk_mul_f16 v1, v1, 0.5 op_sel_hi:[1,0]
	s_waitcnt vmcnt(0)
	v_pk_mul_f16 v10, v7, v8 op_sel_hi:[0,1]
	v_pk_fma_f16 v9, v7, v8, v1 op_sel:[1,0,0]
	v_pk_fma_f16 v11, v7, v8, v1 op_sel:[1,0,0] neg_lo:[1,0,0] neg_hi:[1,0,0]
	v_pk_fma_f16 v1, v7, v8, v1 op_sel:[1,0,0] neg_lo:[0,0,1] neg_hi:[0,0,1]
	v_pk_add_f16 v7, v9, v10 op_sel:[0,1] op_sel_hi:[1,0]
	v_pk_add_f16 v8, v9, v10 op_sel:[0,1] op_sel_hi:[1,0] neg_lo:[0,1] neg_hi:[0,1]
	v_pk_add_f16 v9, v11, v10 op_sel:[0,1] op_sel_hi:[1,0] neg_lo:[0,1] neg_hi:[0,1]
	;; [unrolled: 1-line block ×3, first 2 shown]
	v_bfi_b32 v7, 0xffff, v7, v8
	v_bfi_b32 v1, 0xffff, v9, v1
	ds_write_b32 v20, v7 offset:2856
	ds_write_b32 v6, v1 offset:3672
	s_waitcnt lgkmcnt(0)
	s_barrier
	buffer_gl0_inv
	s_and_saveexec_b32 s0, vcc_lo
	s_cbranch_execz .LBB0_24
; %bb.22:
	ds_read2_b32 v[6:7], v20 offset1:102
	v_add_nc_u32_e32 v8, 0x200, v20
	v_add_co_u32 v1, vcc_lo, s2, v2
	v_add_nc_u32_e32 v10, 0x400, v20
	v_add_nc_u32_e32 v12, 0x800, v20
	v_add_co_ci_u32_e32 v2, vcc_lo, s3, v3, vcc_lo
	ds_read2_b32 v[8:9], v8 offset0:76 offset1:178
	ds_read2_b32 v[10:11], v10 offset0:152 offset1:254
	;; [unrolled: 1-line block ×3, first 2 shown]
	v_add_co_u32 v3, vcc_lo, v1, v4
	v_add_co_ci_u32_e32 v4, vcc_lo, v2, v5, vcc_lo
	v_add_nc_u32_e32 v14, 0xc00, v20
	v_add_nc_u32_e32 v5, 0xe00, v20
	v_add_nc_u32_e32 v16, 0x1200, v20
	v_add_nc_u32_e32 v18, 0x1400, v20
	v_add_co_u32 v20, vcc_lo, 0x800, v3
	ds_read2_b32 v[14:15], v14 offset0:48 offset1:150
	s_waitcnt lgkmcnt(4)
	global_store_dword v[3:4], v6, off
	global_store_dword v[3:4], v7, off offset:408
	ds_read2_b32 v[5:6], v5 offset0:124 offset1:226
	ds_read2_b32 v[16:17], v16 offset0:72 offset1:174
	;; [unrolled: 1-line block ×3, first 2 shown]
	v_add_co_ci_u32_e32 v21, vcc_lo, 0, v4, vcc_lo
	s_waitcnt lgkmcnt(6)
	global_store_dword v[3:4], v8, off offset:816
	global_store_dword v[3:4], v9, off offset:1224
	s_waitcnt lgkmcnt(5)
	global_store_dword v[3:4], v10, off offset:1632
	global_store_dword v[3:4], v11, off offset:2040
	s_waitcnt lgkmcnt(4)
	global_store_dword v[20:21], v12, off offset:400
	v_add_co_u32 v3, vcc_lo, 0x1000, v3
	v_add_co_ci_u32_e32 v4, vcc_lo, 0, v4, vcc_lo
	v_cmp_eq_u32_e32 vcc_lo, 0x65, v0
	global_store_dword v[20:21], v13, off offset:808
	s_waitcnt lgkmcnt(3)
	global_store_dword v[20:21], v14, off offset:1216
	global_store_dword v[20:21], v15, off offset:1624
	s_waitcnt lgkmcnt(2)
	global_store_dword v[20:21], v5, off offset:2032
	;; [unrolled: 3-line block ×4, first 2 shown]
	global_store_dword v[3:4], v19, off offset:2024
	s_and_b32 exec_lo, exec_lo, vcc_lo
	s_cbranch_execz .LBB0_24
; %bb.23:
	v_mov_b32_e32 v0, 0
	ds_read_b32 v3, v0 offset:6528
	v_add_co_u32 v0, vcc_lo, 0x1800, v1
	v_add_co_ci_u32_e32 v1, vcc_lo, 0, v2, vcc_lo
	s_waitcnt lgkmcnt(0)
	global_store_dword v[0:1], v3, off offset:384
.LBB0_24:
	s_endpgm
	.section	.rodata,"a",@progbits
	.p2align	6, 0x0
	.amdhsa_kernel fft_rtc_fwd_len1632_factors_17_2_2_3_8_wgs_102_tpt_102_halfLds_half_ip_CI_unitstride_sbrr_R2C_dirReg
		.amdhsa_group_segment_fixed_size 0
		.amdhsa_private_segment_fixed_size 0
		.amdhsa_kernarg_size 88
		.amdhsa_user_sgpr_count 6
		.amdhsa_user_sgpr_private_segment_buffer 1
		.amdhsa_user_sgpr_dispatch_ptr 0
		.amdhsa_user_sgpr_queue_ptr 0
		.amdhsa_user_sgpr_kernarg_segment_ptr 1
		.amdhsa_user_sgpr_dispatch_id 0
		.amdhsa_user_sgpr_flat_scratch_init 0
		.amdhsa_user_sgpr_private_segment_size 0
		.amdhsa_wavefront_size32 1
		.amdhsa_uses_dynamic_stack 0
		.amdhsa_system_sgpr_private_segment_wavefront_offset 0
		.amdhsa_system_sgpr_workgroup_id_x 1
		.amdhsa_system_sgpr_workgroup_id_y 0
		.amdhsa_system_sgpr_workgroup_id_z 0
		.amdhsa_system_sgpr_workgroup_info 0
		.amdhsa_system_vgpr_workitem_id 0
		.amdhsa_next_free_vgpr 149
		.amdhsa_next_free_sgpr 21
		.amdhsa_reserve_vcc 1
		.amdhsa_reserve_flat_scratch 0
		.amdhsa_float_round_mode_32 0
		.amdhsa_float_round_mode_16_64 0
		.amdhsa_float_denorm_mode_32 3
		.amdhsa_float_denorm_mode_16_64 3
		.amdhsa_dx10_clamp 1
		.amdhsa_ieee_mode 1
		.amdhsa_fp16_overflow 0
		.amdhsa_workgroup_processor_mode 1
		.amdhsa_memory_ordered 1
		.amdhsa_forward_progress 0
		.amdhsa_shared_vgpr_count 0
		.amdhsa_exception_fp_ieee_invalid_op 0
		.amdhsa_exception_fp_denorm_src 0
		.amdhsa_exception_fp_ieee_div_zero 0
		.amdhsa_exception_fp_ieee_overflow 0
		.amdhsa_exception_fp_ieee_underflow 0
		.amdhsa_exception_fp_ieee_inexact 0
		.amdhsa_exception_int_div_zero 0
	.end_amdhsa_kernel
	.text
.Lfunc_end0:
	.size	fft_rtc_fwd_len1632_factors_17_2_2_3_8_wgs_102_tpt_102_halfLds_half_ip_CI_unitstride_sbrr_R2C_dirReg, .Lfunc_end0-fft_rtc_fwd_len1632_factors_17_2_2_3_8_wgs_102_tpt_102_halfLds_half_ip_CI_unitstride_sbrr_R2C_dirReg
                                        ; -- End function
	.section	.AMDGPU.csdata,"",@progbits
; Kernel info:
; codeLenInByte = 14404
; NumSgprs: 23
; NumVgprs: 149
; ScratchSize: 0
; MemoryBound: 0
; FloatMode: 240
; IeeeMode: 1
; LDSByteSize: 0 bytes/workgroup (compile time only)
; SGPRBlocks: 2
; VGPRBlocks: 18
; NumSGPRsForWavesPerEU: 23
; NumVGPRsForWavesPerEU: 149
; Occupancy: 6
; WaveLimiterHint : 1
; COMPUTE_PGM_RSRC2:SCRATCH_EN: 0
; COMPUTE_PGM_RSRC2:USER_SGPR: 6
; COMPUTE_PGM_RSRC2:TRAP_HANDLER: 0
; COMPUTE_PGM_RSRC2:TGID_X_EN: 1
; COMPUTE_PGM_RSRC2:TGID_Y_EN: 0
; COMPUTE_PGM_RSRC2:TGID_Z_EN: 0
; COMPUTE_PGM_RSRC2:TIDIG_COMP_CNT: 0
	.text
	.p2alignl 6, 3214868480
	.fill 48, 4, 3214868480
	.type	__hip_cuid_896c1e19ee408822,@object ; @__hip_cuid_896c1e19ee408822
	.section	.bss,"aw",@nobits
	.globl	__hip_cuid_896c1e19ee408822
__hip_cuid_896c1e19ee408822:
	.byte	0                               ; 0x0
	.size	__hip_cuid_896c1e19ee408822, 1

	.ident	"AMD clang version 19.0.0git (https://github.com/RadeonOpenCompute/llvm-project roc-6.4.0 25133 c7fe45cf4b819c5991fe208aaa96edf142730f1d)"
	.section	".note.GNU-stack","",@progbits
	.addrsig
	.addrsig_sym __hip_cuid_896c1e19ee408822
	.amdgpu_metadata
---
amdhsa.kernels:
  - .args:
      - .actual_access:  read_only
        .address_space:  global
        .offset:         0
        .size:           8
        .value_kind:     global_buffer
      - .offset:         8
        .size:           8
        .value_kind:     by_value
      - .actual_access:  read_only
        .address_space:  global
        .offset:         16
        .size:           8
        .value_kind:     global_buffer
      - .actual_access:  read_only
        .address_space:  global
        .offset:         24
        .size:           8
        .value_kind:     global_buffer
      - .offset:         32
        .size:           8
        .value_kind:     by_value
      - .actual_access:  read_only
        .address_space:  global
        .offset:         40
        .size:           8
        .value_kind:     global_buffer
      - .actual_access:  read_only
        .address_space:  global
        .offset:         48
        .size:           8
        .value_kind:     global_buffer
      - .offset:         56
        .size:           4
        .value_kind:     by_value
      - .actual_access:  read_only
        .address_space:  global
        .offset:         64
        .size:           8
        .value_kind:     global_buffer
      - .actual_access:  read_only
        .address_space:  global
        .offset:         72
        .size:           8
        .value_kind:     global_buffer
      - .address_space:  global
        .offset:         80
        .size:           8
        .value_kind:     global_buffer
    .group_segment_fixed_size: 0
    .kernarg_segment_align: 8
    .kernarg_segment_size: 88
    .language:       OpenCL C
    .language_version:
      - 2
      - 0
    .max_flat_workgroup_size: 102
    .name:           fft_rtc_fwd_len1632_factors_17_2_2_3_8_wgs_102_tpt_102_halfLds_half_ip_CI_unitstride_sbrr_R2C_dirReg
    .private_segment_fixed_size: 0
    .sgpr_count:     23
    .sgpr_spill_count: 0
    .symbol:         fft_rtc_fwd_len1632_factors_17_2_2_3_8_wgs_102_tpt_102_halfLds_half_ip_CI_unitstride_sbrr_R2C_dirReg.kd
    .uniform_work_group_size: 1
    .uses_dynamic_stack: false
    .vgpr_count:     149
    .vgpr_spill_count: 0
    .wavefront_size: 32
    .workgroup_processor_mode: 1
amdhsa.target:   amdgcn-amd-amdhsa--gfx1030
amdhsa.version:
  - 1
  - 2
...

	.end_amdgpu_metadata
